;; amdgpu-corpus repo=ROCm/rocFFT kind=compiled arch=gfx1201 opt=O3
	.text
	.amdgcn_target "amdgcn-amd-amdhsa--gfx1201"
	.amdhsa_code_object_version 6
	.protected	fft_rtc_back_len2016_factors_2_2_2_2_2_3_3_7_wgs_224_tpt_112_halfLds_dp_op_CI_CI_sbrr_dirReg ; -- Begin function fft_rtc_back_len2016_factors_2_2_2_2_2_3_3_7_wgs_224_tpt_112_halfLds_dp_op_CI_CI_sbrr_dirReg
	.globl	fft_rtc_back_len2016_factors_2_2_2_2_2_3_3_7_wgs_224_tpt_112_halfLds_dp_op_CI_CI_sbrr_dirReg
	.p2align	8
	.type	fft_rtc_back_len2016_factors_2_2_2_2_2_3_3_7_wgs_224_tpt_112_halfLds_dp_op_CI_CI_sbrr_dirReg,@function
fft_rtc_back_len2016_factors_2_2_2_2_2_3_3_7_wgs_224_tpt_112_halfLds_dp_op_CI_CI_sbrr_dirReg: ; @fft_rtc_back_len2016_factors_2_2_2_2_2_3_3_7_wgs_224_tpt_112_halfLds_dp_op_CI_CI_sbrr_dirReg
; %bb.0:
	s_clause 0x2
	s_load_b128 s[12:15], s[0:1], 0x18
	s_load_b128 s[4:7], s[0:1], 0x0
	;; [unrolled: 1-line block ×3, first 2 shown]
	v_mul_u32_u24_e32 v1, 0x24a, v0
	v_mov_b32_e32 v4, 0
	v_mov_b32_e32 v5, 0
	s_wait_kmcnt 0x0
	s_load_b64 s[18:19], s[12:13], 0x0
	s_load_b64 s[16:17], s[14:15], 0x0
	v_lshrrev_b32_e32 v72, 16, v1
	v_mov_b32_e32 v1, 0
	v_cmp_lt_u64_e64 s2, s[6:7], 2
	s_delay_alu instid0(VALU_DEP_3) | instskip(NEXT) | instid1(VALU_DEP_3)
	v_lshl_add_u32 v6, ttmp9, 1, v72
	v_mov_b32_e32 v7, v1
	s_delay_alu instid0(VALU_DEP_3)
	s_and_b32 vcc_lo, exec_lo, s2
	s_cbranch_vccnz .LBB0_8
; %bb.1:
	s_load_b64 s[2:3], s[0:1], 0x10
	v_mov_b32_e32 v4, 0
	v_mov_b32_e32 v5, 0
	s_add_nc_u64 s[20:21], s[14:15], 8
	s_add_nc_u64 s[22:23], s[12:13], 8
	s_mov_b64 s[24:25], 1
	s_delay_alu instid0(VALU_DEP_1)
	v_dual_mov_b32 v97, v5 :: v_dual_mov_b32 v96, v4
	s_wait_kmcnt 0x0
	s_add_nc_u64 s[26:27], s[2:3], 8
	s_mov_b32 s3, 0
.LBB0_2:                                ; =>This Inner Loop Header: Depth=1
	s_load_b64 s[28:29], s[26:27], 0x0
                                        ; implicit-def: $vgpr98_vgpr99
	s_mov_b32 s2, exec_lo
	s_wait_kmcnt 0x0
	v_or_b32_e32 v2, s29, v7
	s_delay_alu instid0(VALU_DEP_1)
	v_cmpx_ne_u64_e32 0, v[1:2]
	s_wait_alu 0xfffe
	s_xor_b32 s30, exec_lo, s2
	s_cbranch_execz .LBB0_4
; %bb.3:                                ;   in Loop: Header=BB0_2 Depth=1
	s_cvt_f32_u32 s2, s28
	s_cvt_f32_u32 s31, s29
	s_sub_nc_u64 s[36:37], 0, s[28:29]
	s_wait_alu 0xfffe
	s_delay_alu instid0(SALU_CYCLE_1) | instskip(SKIP_1) | instid1(SALU_CYCLE_2)
	s_fmamk_f32 s2, s31, 0x4f800000, s2
	s_wait_alu 0xfffe
	v_s_rcp_f32 s2, s2
	s_delay_alu instid0(TRANS32_DEP_1) | instskip(SKIP_1) | instid1(SALU_CYCLE_2)
	s_mul_f32 s2, s2, 0x5f7ffffc
	s_wait_alu 0xfffe
	s_mul_f32 s31, s2, 0x2f800000
	s_wait_alu 0xfffe
	s_delay_alu instid0(SALU_CYCLE_2) | instskip(SKIP_1) | instid1(SALU_CYCLE_2)
	s_trunc_f32 s31, s31
	s_wait_alu 0xfffe
	s_fmamk_f32 s2, s31, 0xcf800000, s2
	s_cvt_u32_f32 s35, s31
	s_wait_alu 0xfffe
	s_delay_alu instid0(SALU_CYCLE_1) | instskip(SKIP_1) | instid1(SALU_CYCLE_2)
	s_cvt_u32_f32 s34, s2
	s_wait_alu 0xfffe
	s_mul_u64 s[38:39], s[36:37], s[34:35]
	s_wait_alu 0xfffe
	s_mul_hi_u32 s41, s34, s39
	s_mul_i32 s40, s34, s39
	s_mul_hi_u32 s2, s34, s38
	s_mul_i32 s33, s35, s38
	s_wait_alu 0xfffe
	s_add_nc_u64 s[40:41], s[2:3], s[40:41]
	s_mul_hi_u32 s31, s35, s38
	s_mul_hi_u32 s42, s35, s39
	s_add_co_u32 s2, s40, s33
	s_wait_alu 0xfffe
	s_add_co_ci_u32 s2, s41, s31
	s_mul_i32 s38, s35, s39
	s_add_co_ci_u32 s39, s42, 0
	s_wait_alu 0xfffe
	s_add_nc_u64 s[38:39], s[2:3], s[38:39]
	s_wait_alu 0xfffe
	v_add_co_u32 v2, s2, s34, s38
	s_delay_alu instid0(VALU_DEP_1) | instskip(SKIP_1) | instid1(VALU_DEP_1)
	s_cmp_lg_u32 s2, 0
	s_add_co_ci_u32 s35, s35, s39
	v_readfirstlane_b32 s34, v2
	s_wait_alu 0xfffe
	s_delay_alu instid0(VALU_DEP_1)
	s_mul_u64 s[36:37], s[36:37], s[34:35]
	s_wait_alu 0xfffe
	s_mul_hi_u32 s39, s34, s37
	s_mul_i32 s38, s34, s37
	s_mul_hi_u32 s2, s34, s36
	s_mul_i32 s33, s35, s36
	s_wait_alu 0xfffe
	s_add_nc_u64 s[38:39], s[2:3], s[38:39]
	s_mul_hi_u32 s31, s35, s36
	s_mul_hi_u32 s34, s35, s37
	s_wait_alu 0xfffe
	s_add_co_u32 s2, s38, s33
	s_add_co_ci_u32 s2, s39, s31
	s_mul_i32 s36, s35, s37
	s_add_co_ci_u32 s37, s34, 0
	s_wait_alu 0xfffe
	s_add_nc_u64 s[36:37], s[2:3], s[36:37]
	s_wait_alu 0xfffe
	v_add_co_u32 v8, s2, v2, s36
	s_delay_alu instid0(VALU_DEP_1) | instskip(SKIP_1) | instid1(VALU_DEP_1)
	s_cmp_lg_u32 s2, 0
	s_add_co_ci_u32 s2, s35, s37
	v_mul_hi_u32 v12, v6, v8
	s_wait_alu 0xfffe
	v_mad_co_u64_u32 v[2:3], null, v6, s2, 0
	v_mad_co_u64_u32 v[8:9], null, v7, v8, 0
	;; [unrolled: 1-line block ×3, first 2 shown]
	s_delay_alu instid0(VALU_DEP_3) | instskip(SKIP_1) | instid1(VALU_DEP_4)
	v_add_co_u32 v2, vcc_lo, v12, v2
	s_wait_alu 0xfffd
	v_add_co_ci_u32_e32 v3, vcc_lo, 0, v3, vcc_lo
	s_delay_alu instid0(VALU_DEP_2) | instskip(SKIP_1) | instid1(VALU_DEP_2)
	v_add_co_u32 v2, vcc_lo, v2, v8
	s_wait_alu 0xfffd
	v_add_co_ci_u32_e32 v2, vcc_lo, v3, v9, vcc_lo
	s_wait_alu 0xfffd
	v_add_co_ci_u32_e32 v3, vcc_lo, 0, v11, vcc_lo
	s_delay_alu instid0(VALU_DEP_2) | instskip(SKIP_1) | instid1(VALU_DEP_2)
	v_add_co_u32 v8, vcc_lo, v2, v10
	s_wait_alu 0xfffd
	v_add_co_ci_u32_e32 v9, vcc_lo, 0, v3, vcc_lo
	s_delay_alu instid0(VALU_DEP_2) | instskip(SKIP_1) | instid1(VALU_DEP_3)
	v_mul_lo_u32 v10, s29, v8
	v_mad_co_u64_u32 v[2:3], null, s28, v8, 0
	v_mul_lo_u32 v11, s28, v9
	s_delay_alu instid0(VALU_DEP_2) | instskip(NEXT) | instid1(VALU_DEP_2)
	v_sub_co_u32 v2, vcc_lo, v6, v2
	v_add3_u32 v3, v3, v11, v10
	s_delay_alu instid0(VALU_DEP_1) | instskip(SKIP_1) | instid1(VALU_DEP_1)
	v_sub_nc_u32_e32 v10, v7, v3
	s_wait_alu 0xfffd
	v_subrev_co_ci_u32_e64 v10, s2, s29, v10, vcc_lo
	v_add_co_u32 v11, s2, v8, 2
	s_wait_alu 0xf1ff
	v_add_co_ci_u32_e64 v12, s2, 0, v9, s2
	v_sub_co_u32 v13, s2, v2, s28
	v_sub_co_ci_u32_e32 v3, vcc_lo, v7, v3, vcc_lo
	s_wait_alu 0xf1ff
	v_subrev_co_ci_u32_e64 v10, s2, 0, v10, s2
	s_delay_alu instid0(VALU_DEP_3) | instskip(NEXT) | instid1(VALU_DEP_3)
	v_cmp_le_u32_e32 vcc_lo, s28, v13
	v_cmp_eq_u32_e64 s2, s29, v3
	s_wait_alu 0xfffd
	v_cndmask_b32_e64 v13, 0, -1, vcc_lo
	v_cmp_le_u32_e32 vcc_lo, s29, v10
	s_wait_alu 0xfffd
	v_cndmask_b32_e64 v14, 0, -1, vcc_lo
	v_cmp_le_u32_e32 vcc_lo, s28, v2
	;; [unrolled: 3-line block ×3, first 2 shown]
	s_wait_alu 0xfffd
	v_cndmask_b32_e64 v15, 0, -1, vcc_lo
	v_cmp_eq_u32_e32 vcc_lo, s29, v10
	s_wait_alu 0xf1ff
	s_delay_alu instid0(VALU_DEP_2)
	v_cndmask_b32_e64 v2, v15, v2, s2
	s_wait_alu 0xfffd
	v_cndmask_b32_e32 v10, v14, v13, vcc_lo
	v_add_co_u32 v13, vcc_lo, v8, 1
	s_wait_alu 0xfffd
	v_add_co_ci_u32_e32 v14, vcc_lo, 0, v9, vcc_lo
	s_delay_alu instid0(VALU_DEP_3) | instskip(SKIP_1) | instid1(VALU_DEP_2)
	v_cmp_ne_u32_e32 vcc_lo, 0, v10
	s_wait_alu 0xfffd
	v_dual_cndmask_b32 v3, v14, v12 :: v_dual_cndmask_b32 v10, v13, v11
	v_cmp_ne_u32_e32 vcc_lo, 0, v2
	s_wait_alu 0xfffd
	s_delay_alu instid0(VALU_DEP_2)
	v_dual_cndmask_b32 v99, v9, v3 :: v_dual_cndmask_b32 v98, v8, v10
.LBB0_4:                                ;   in Loop: Header=BB0_2 Depth=1
	s_wait_alu 0xfffe
	s_and_not1_saveexec_b32 s2, s30
	s_cbranch_execz .LBB0_6
; %bb.5:                                ;   in Loop: Header=BB0_2 Depth=1
	v_cvt_f32_u32_e32 v2, s28
	s_sub_co_i32 s30, 0, s28
	v_mov_b32_e32 v99, v1
	s_delay_alu instid0(VALU_DEP_2) | instskip(NEXT) | instid1(TRANS32_DEP_1)
	v_rcp_iflag_f32_e32 v2, v2
	v_mul_f32_e32 v2, 0x4f7ffffe, v2
	s_delay_alu instid0(VALU_DEP_1) | instskip(SKIP_1) | instid1(VALU_DEP_1)
	v_cvt_u32_f32_e32 v2, v2
	s_wait_alu 0xfffe
	v_mul_lo_u32 v3, s30, v2
	s_delay_alu instid0(VALU_DEP_1) | instskip(NEXT) | instid1(VALU_DEP_1)
	v_mul_hi_u32 v3, v2, v3
	v_add_nc_u32_e32 v2, v2, v3
	s_delay_alu instid0(VALU_DEP_1) | instskip(NEXT) | instid1(VALU_DEP_1)
	v_mul_hi_u32 v2, v6, v2
	v_mul_lo_u32 v3, v2, s28
	v_add_nc_u32_e32 v8, 1, v2
	s_delay_alu instid0(VALU_DEP_2) | instskip(NEXT) | instid1(VALU_DEP_1)
	v_sub_nc_u32_e32 v3, v6, v3
	v_subrev_nc_u32_e32 v9, s28, v3
	v_cmp_le_u32_e32 vcc_lo, s28, v3
	s_wait_alu 0xfffd
	s_delay_alu instid0(VALU_DEP_2) | instskip(NEXT) | instid1(VALU_DEP_1)
	v_dual_cndmask_b32 v3, v3, v9 :: v_dual_cndmask_b32 v2, v2, v8
	v_cmp_le_u32_e32 vcc_lo, s28, v3
	s_delay_alu instid0(VALU_DEP_2) | instskip(SKIP_1) | instid1(VALU_DEP_1)
	v_add_nc_u32_e32 v8, 1, v2
	s_wait_alu 0xfffd
	v_cndmask_b32_e32 v98, v2, v8, vcc_lo
.LBB0_6:                                ;   in Loop: Header=BB0_2 Depth=1
	s_wait_alu 0xfffe
	s_or_b32 exec_lo, exec_lo, s2
	v_mul_lo_u32 v8, v99, s28
	s_delay_alu instid0(VALU_DEP_2)
	v_mul_lo_u32 v9, v98, s29
	s_load_b64 s[30:31], s[22:23], 0x0
	v_mad_co_u64_u32 v[2:3], null, v98, s28, 0
	s_load_b64 s[28:29], s[20:21], 0x0
	s_add_nc_u64 s[24:25], s[24:25], 1
	s_add_nc_u64 s[20:21], s[20:21], 8
	s_wait_alu 0xfffe
	v_cmp_ge_u64_e64 s2, s[24:25], s[6:7]
	s_add_nc_u64 s[22:23], s[22:23], 8
	s_add_nc_u64 s[26:27], s[26:27], 8
	v_add3_u32 v3, v3, v9, v8
	v_sub_co_u32 v2, vcc_lo, v6, v2
	s_wait_alu 0xfffd
	s_delay_alu instid0(VALU_DEP_2) | instskip(SKIP_2) | instid1(VALU_DEP_1)
	v_sub_co_ci_u32_e32 v3, vcc_lo, v7, v3, vcc_lo
	s_and_b32 vcc_lo, exec_lo, s2
	s_wait_kmcnt 0x0
	v_mul_lo_u32 v6, s30, v3
	v_mul_lo_u32 v7, s31, v2
	v_mad_co_u64_u32 v[4:5], null, s30, v2, v[4:5]
	v_mul_lo_u32 v3, s28, v3
	v_mul_lo_u32 v8, s29, v2
	v_mad_co_u64_u32 v[96:97], null, s28, v2, v[96:97]
	s_delay_alu instid0(VALU_DEP_4) | instskip(NEXT) | instid1(VALU_DEP_2)
	v_add3_u32 v5, v7, v5, v6
	v_add3_u32 v97, v8, v97, v3
	s_wait_alu 0xfffe
	s_cbranch_vccnz .LBB0_9
; %bb.7:                                ;   in Loop: Header=BB0_2 Depth=1
	v_dual_mov_b32 v6, v98 :: v_dual_mov_b32 v7, v99
	s_branch .LBB0_2
.LBB0_8:
	v_dual_mov_b32 v97, v5 :: v_dual_mov_b32 v96, v4
	s_delay_alu instid0(VALU_DEP_2)
	v_dual_mov_b32 v99, v7 :: v_dual_mov_b32 v98, v6
.LBB0_9:
	s_load_b64 s[0:1], s[0:1], 0x28
	v_mul_hi_u32 v1, 0x2492493, v0
	s_lshl_b64 s[6:7], s[6:7], 3
                                        ; implicit-def: $vgpr138
                                        ; implicit-def: $vgpr136
                                        ; implicit-def: $vgpr139
                                        ; implicit-def: $vgpr105
                                        ; implicit-def: $vgpr106
                                        ; implicit-def: $vgpr104
                                        ; implicit-def: $vgpr73
                                        ; implicit-def: $vgpr74
                                        ; implicit-def: $vgpr75
	s_wait_kmcnt 0x0
	v_cmp_gt_u64_e32 vcc_lo, s[0:1], v[98:99]
	v_cmp_le_u64_e64 s0, s[0:1], v[98:99]
	s_delay_alu instid0(VALU_DEP_1)
	s_and_saveexec_b32 s1, s0
	s_wait_alu 0xfffe
	s_xor_b32 s0, exec_lo, s1
; %bb.10:
	v_mul_u32_u24_e32 v1, 0x70, v1
                                        ; implicit-def: $vgpr4_vgpr5
	s_delay_alu instid0(VALU_DEP_1) | instskip(NEXT) | instid1(VALU_DEP_1)
	v_sub_nc_u32_e32 v138, v0, v1
                                        ; implicit-def: $vgpr1
                                        ; implicit-def: $vgpr0
	v_add_nc_u32_e32 v136, 0x70, v138
	v_add_nc_u32_e32 v139, 0xe0, v138
	;; [unrolled: 1-line block ×7, first 2 shown]
	v_or_b32_e32 v75, 0x380, v138
; %bb.11:
	s_wait_alu 0xfffe
	s_or_saveexec_b32 s1, s0
	s_add_nc_u64 s[2:3], s[14:15], s[6:7]
                                        ; implicit-def: $vgpr66_vgpr67
                                        ; implicit-def: $vgpr50_vgpr51
                                        ; implicit-def: $vgpr62_vgpr63
                                        ; implicit-def: $vgpr54_vgpr55
                                        ; implicit-def: $vgpr70_vgpr71
                                        ; implicit-def: $vgpr58_vgpr59
                                        ; implicit-def: $vgpr46_vgpr47
                                        ; implicit-def: $vgpr42_vgpr43
                                        ; implicit-def: $vgpr38_vgpr39
                                        ; implicit-def: $vgpr30_vgpr31
                                        ; implicit-def: $vgpr34_vgpr35
                                        ; implicit-def: $vgpr26_vgpr27
                                        ; implicit-def: $vgpr14_vgpr15
                                        ; implicit-def: $vgpr6_vgpr7
                                        ; implicit-def: $vgpr22_vgpr23
                                        ; implicit-def: $vgpr10_vgpr11
                                        ; implicit-def: $vgpr18_vgpr19
                                        ; implicit-def: $vgpr2_vgpr3
	s_wait_alu 0xfffe
	s_xor_b32 exec_lo, exec_lo, s1
	s_cbranch_execz .LBB0_13
; %bb.12:
	s_add_nc_u64 s[6:7], s[12:13], s[6:7]
	v_mul_u32_u24_e32 v1, 0x70, v1
	s_load_b64 s[6:7], s[6:7], 0x0
	v_lshlrev_b64_e32 v[4:5], 4, v[4:5]
	s_delay_alu instid0(VALU_DEP_2) | instskip(NEXT) | instid1(VALU_DEP_1)
	v_sub_nc_u32_e32 v138, v0, v1
	v_add_nc_u32_e32 v73, 0x2a0, v138
	v_mad_co_u64_u32 v[0:1], null, s18, v138, 0
	v_add_nc_u32_e32 v44, 0x620, v138
	v_add_nc_u32_e32 v139, 0xe0, v138
	s_delay_alu instid0(VALU_DEP_4) | instskip(SKIP_1) | instid1(VALU_DEP_4)
	v_mad_co_u64_u32 v[48:49], null, s18, v73, 0
	v_add_nc_u32_e32 v105, 0x150, v138
	v_mad_co_u64_u32 v[40:41], null, s18, v44, 0
	v_add_nc_u32_e32 v47, 0x690, v138
	s_wait_kmcnt 0x0
	v_mad_co_u64_u32 v[2:3], null, s6, v98, 0
	v_mul_lo_u32 v12, s7, v98
	v_mul_lo_u32 v14, s6, v99
	v_mad_co_u64_u32 v[24:25], null, s18, v105, 0
	v_add_nc_u32_e32 v15, 0x460, v138
	v_mad_co_u64_u32 v[50:51], null, s18, v47, 0
	v_mad_co_u64_u32 v[10:11], null, s19, v138, v[1:2]
	v_add_nc_u32_e32 v136, 0x70, v138
	v_add3_u32 v3, v3, v14, v12
	v_mad_co_u64_u32 v[11:12], null, s18, v15, 0
	v_add_nc_u32_e32 v13, 0x3f0, v138
	v_or_b32_e32 v75, 0x380, v138
	v_mov_b32_e32 v1, v10
	v_mad_co_u64_u32 v[8:9], null, s18, v136, 0
	s_delay_alu instid0(VALU_DEP_4) | instskip(SKIP_1) | instid1(VALU_DEP_4)
	v_mad_co_u64_u32 v[6:7], null, s18, v13, 0
	v_lshlrev_b64_e32 v[2:3], 4, v[2:3]
	v_lshlrev_b64_e32 v[0:1], 4, v[0:1]
	v_mad_co_u64_u32 v[57:58], null, s18, v75, 0
	v_mad_co_u64_u32 v[9:10], null, s19, v136, v[9:10]
	;; [unrolled: 1-line block ×3, first 2 shown]
	v_add_co_u32 v2, s0, s8, v2
	s_wait_alu 0xf1ff
	v_add_co_ci_u32_e64 v3, s0, s9, v3, s0
	v_add_nc_u32_e32 v106, 0x1c0, v138
	s_delay_alu instid0(VALU_DEP_3) | instskip(SKIP_3) | instid1(VALU_DEP_3)
	v_add_co_u32 v66, s0, v2, v4
	v_mov_b32_e32 v7, v13
	s_wait_alu 0xf1ff
	v_add_co_ci_u32_e64 v67, s0, v3, v5, s0
	v_add_co_u32 v0, s0, v66, v0
	s_delay_alu instid0(VALU_DEP_3) | instskip(SKIP_1) | instid1(VALU_DEP_3)
	v_lshlrev_b64_e32 v[2:3], 4, v[6:7]
	s_wait_alu 0xf1ff
	v_add_co_ci_u32_e64 v1, s0, v67, v1, s0
	v_mad_co_u64_u32 v[6:7], null, s18, v139, 0
	v_or_b32_e32 v59, 0x700, v138
	s_delay_alu instid0(VALU_DEP_4)
	v_add_co_u32 v4, s0, v66, v2
	v_mov_b32_e32 v2, v12
	s_wait_alu 0xf1ff
	v_add_co_ci_u32_e64 v5, s0, v67, v3, s0
	v_add_nc_u32_e32 v34, 0x5b0, v138
	v_add_nc_u32_e32 v104, 0x230, v138
	v_mad_co_u64_u32 v[12:13], null, s19, v15, v[2:3]
	v_add_nc_u32_e32 v15, 0x4d0, v138
	s_clause 0x1
	global_load_b128 v[0:3], v[0:1], off
	global_load_b128 v[16:19], v[4:5], off
	v_lshlrev_b64_e32 v[4:5], 4, v[8:9]
	v_mad_co_u64_u32 v[36:37], null, s18, v34, 0
	v_mad_co_u64_u32 v[8:9], null, s18, v15, 0
	v_lshlrev_b64_e32 v[10:11], 4, v[11:12]
	s_delay_alu instid0(VALU_DEP_4)
	v_add_co_u32 v4, s0, v66, v4
	s_wait_alu 0xf1ff
	v_add_co_ci_u32_e64 v5, s0, v67, v5, s0
	v_add_nc_u32_e32 v74, 0x310, v138
	v_mad_co_u64_u32 v[13:14], null, s19, v139, v[7:8]
	v_mad_co_u64_u32 v[38:39], null, s18, v104, 0
	s_delay_alu instid0(VALU_DEP_3) | instskip(NEXT) | instid1(VALU_DEP_3)
	v_mad_co_u64_u32 v[52:53], null, s18, v74, 0
	v_dual_mov_b32 v7, v13 :: v_dual_add_nc_u32 v62, 0x770, v138
	v_mad_co_u64_u32 v[12:13], null, s19, v15, v[9:10]
	v_add_nc_u32_e32 v15, 0x540, v138
	v_add_co_u32 v13, s0, v66, v10
	v_mov_b32_e32 v10, v25
	s_wait_alu 0xf1ff
	v_add_co_ci_u32_e64 v14, s0, v67, v11, s0
	v_mad_co_u64_u32 v[26:27], null, s18, v15, 0
	v_mov_b32_e32 v9, v12
	v_mad_co_u64_u32 v[10:11], null, s19, v105, v[10:11]
	v_lshlrev_b64_e32 v[6:7], 4, v[6:7]
	s_delay_alu instid0(VALU_DEP_3) | instskip(SKIP_1) | instid1(VALU_DEP_3)
	v_lshlrev_b64_e32 v[8:9], 4, v[8:9]
	v_mov_b32_e32 v11, v27
	v_add_co_u32 v6, s0, v66, v6
	s_delay_alu instid0(VALU_DEP_2)
	v_mad_co_u64_u32 v[29:30], null, s19, v15, v[11:12]
	v_mad_co_u64_u32 v[30:31], null, s18, v106, 0
	s_wait_alu 0xf1ff
	v_add_co_ci_u32_e64 v7, s0, v67, v7, s0
	v_add_co_u32 v27, s0, v66, v8
	s_wait_alu 0xf1ff
	v_add_co_ci_u32_e64 v28, s0, v67, v9, s0
	v_mov_b32_e32 v25, v10
	s_clause 0x3
	global_load_b128 v[8:11], v[4:5], off
	global_load_b128 v[20:23], v[13:14], off
	;; [unrolled: 1-line block ×4, first 2 shown]
	v_dual_mov_b32 v28, v31 :: v_dual_mov_b32 v27, v29
	v_lshlrev_b64_e32 v[24:25], 4, v[24:25]
	s_delay_alu instid0(VALU_DEP_2) | instskip(SKIP_1) | instid1(VALU_DEP_4)
	v_mad_co_u64_u32 v[28:29], null, s19, v106, v[28:29]
	v_mov_b32_e32 v29, v37
	v_lshlrev_b64_e32 v[26:27], 4, v[26:27]
	s_delay_alu instid0(VALU_DEP_4)
	v_add_co_u32 v24, s0, v66, v24
	s_wait_alu 0xf1ff
	v_add_co_ci_u32_e64 v25, s0, v67, v25, s0
	v_mov_b32_e32 v31, v28
	v_mad_co_u64_u32 v[28:29], null, s19, v34, v[29:30]
	v_mov_b32_e32 v29, v39
	v_add_co_u32 v32, s0, v66, v26
	s_delay_alu instid0(VALU_DEP_4)
	v_lshlrev_b64_e32 v[30:31], 4, v[30:31]
	s_wait_alu 0xf1ff
	v_add_co_ci_u32_e64 v33, s0, v67, v27, s0
	v_dual_mov_b32 v37, v28 :: v_dual_mov_b32 v28, v41
	s_clause 0x1
	global_load_b128 v[24:27], v[24:25], off
	global_load_b128 v[32:35], v[32:33], off
	v_mad_co_u64_u32 v[42:43], null, s19, v104, v[29:30]
	v_add_co_u32 v29, s0, v66, v30
	v_lshlrev_b64_e32 v[36:37], 4, v[36:37]
	s_wait_alu 0xf1ff
	v_add_co_ci_u32_e64 v30, s0, v67, v31, s0
	s_delay_alu instid0(VALU_DEP_4) | instskip(SKIP_1) | instid1(VALU_DEP_4)
	v_mov_b32_e32 v39, v42
	v_mad_co_u64_u32 v[41:42], null, s19, v44, v[28:29]
	v_add_co_u32 v36, s0, v66, v36
	s_delay_alu instid0(VALU_DEP_3)
	v_lshlrev_b64_e32 v[42:43], 4, v[38:39]
	v_mov_b32_e32 v44, v49
	s_wait_alu 0xf1ff
	v_add_co_ci_u32_e64 v37, s0, v67, v37, s0
	v_lshlrev_b64_e32 v[40:41], 4, v[40:41]
	s_clause 0x1
	global_load_b128 v[28:31], v[29:30], off
	global_load_b128 v[36:39], v[36:37], off
	v_add_co_u32 v42, s0, v66, v42
	s_wait_alu 0xf1ff
	v_add_co_ci_u32_e64 v43, s0, v67, v43, s0
	v_mad_co_u64_u32 v[44:45], null, s19, v73, v[44:45]
	v_add_co_u32 v45, s0, v66, v40
	v_mov_b32_e32 v40, v51
	s_wait_alu 0xf1ff
	v_add_co_ci_u32_e64 v46, s0, v67, v41, s0
	s_delay_alu instid0(VALU_DEP_4) | instskip(NEXT) | instid1(VALU_DEP_3)
	v_mov_b32_e32 v49, v44
	v_mad_co_u64_u32 v[54:55], null, s19, v47, v[40:41]
	v_mad_co_u64_u32 v[55:56], null, s18, v59, 0
	s_delay_alu instid0(VALU_DEP_3)
	v_lshlrev_b64_e32 v[48:49], 4, v[48:49]
	s_clause 0x1
	global_load_b128 v[40:43], v[42:43], off
	global_load_b128 v[44:47], v[45:46], off
	v_mov_b32_e32 v51, v54
	v_mad_co_u64_u32 v[53:54], null, s19, v74, v[53:54]
	v_mov_b32_e32 v54, v56
	v_add_co_u32 v48, s0, v66, v48
	s_delay_alu instid0(VALU_DEP_4)
	v_lshlrev_b64_e32 v[50:51], 4, v[50:51]
	s_wait_alu 0xf1ff
	v_add_co_ci_u32_e64 v49, s0, v67, v49, s0
	v_mad_co_u64_u32 v[59:60], null, s19, v59, v[54:55]
	v_mad_co_u64_u32 v[60:61], null, s18, v62, 0
	v_mov_b32_e32 v54, v58
	v_lshlrev_b64_e32 v[52:53], 4, v[52:53]
	v_add_co_u32 v50, s0, v66, v50
	v_mov_b32_e32 v56, v59
	s_delay_alu instid0(VALU_DEP_4) | instskip(SKIP_4) | instid1(VALU_DEP_3)
	v_mad_co_u64_u32 v[58:59], null, s19, v75, v[54:55]
	v_mov_b32_e32 v54, v61
	s_wait_alu 0xf1ff
	v_add_co_ci_u32_e64 v51, s0, v67, v51, s0
	v_add_co_u32 v52, s0, v66, v52
	v_mad_co_u64_u32 v[61:62], null, s19, v62, v[54:55]
	v_lshlrev_b64_e32 v[54:55], 4, v[55:56]
	s_wait_alu 0xf1ff
	v_add_co_ci_u32_e64 v53, s0, v67, v53, s0
	v_lshlrev_b64_e32 v[56:57], 4, v[57:58]
	s_delay_alu instid0(VALU_DEP_3) | instskip(SKIP_3) | instid1(VALU_DEP_4)
	v_add_co_u32 v62, s0, v66, v54
	s_wait_alu 0xf1ff
	v_add_co_ci_u32_e64 v63, s0, v67, v55, s0
	v_lshlrev_b64_e32 v[54:55], 4, v[60:61]
	v_add_co_u32 v64, s0, v66, v56
	s_wait_alu 0xf1ff
	v_add_co_ci_u32_e64 v65, s0, v67, v57, s0
	s_delay_alu instid0(VALU_DEP_3)
	v_add_co_u32 v66, s0, v66, v54
	s_wait_alu 0xf1ff
	v_add_co_ci_u32_e64 v67, s0, v67, v55, s0
	s_clause 0x5
	global_load_b128 v[56:59], v[48:49], off
	global_load_b128 v[68:71], v[50:51], off
	;; [unrolled: 1-line block ×6, first 2 shown]
.LBB0_13:
	s_or_b32 exec_lo, exec_lo, s1
	s_wait_loadcnt 0xa
	v_add_f64_e64 v[82:83], v[24:25], -v[32:33]
	v_add_f64_e64 v[16:17], v[0:1], -v[16:17]
	;; [unrolled: 1-line block ×8, first 2 shown]
	s_wait_loadcnt 0x8
	v_add_f64_e64 v[36:37], v[28:29], -v[36:37]
	v_add_f64_e64 v[32:33], v[30:31], -v[38:39]
	s_wait_loadcnt 0x6
	v_add_f64_e64 v[86:87], v[40:41], -v[44:45]
	s_wait_loadcnt 0x4
	;; [unrolled: 2-line block ×4, first 2 shown]
	v_add_f64_e64 v[64:65], v[48:49], -v[64:65]
	v_add_f64_e64 v[44:45], v[42:43], -v[46:47]
	;; [unrolled: 1-line block ×4, first 2 shown]
	v_and_b32_e32 v18, 1, v72
	v_add_f64_e64 v[132:133], v[50:51], -v[66:67]
	v_lshlrev_b32_e32 v92, 3, v106
	v_lshlrev_b32_e32 v93, 3, v104
	;; [unrolled: 1-line block ×3, first 2 shown]
	v_cmp_eq_u32_e64 s0, 1, v18
	s_load_b64 s[2:3], s[2:3], 0x0
	v_and_b32_e32 v121, 3, v138
	v_and_b32_e32 v165, 0xffff, v106
	v_lshrrev_b32_e32 v157, 5, v136
	v_cndmask_b32_e64 v108, 0, 0x3f00, s0
	v_and_b32_e32 v163, 0xffff, v139
	v_and_b32_e32 v164, 0xffff, v105
	v_lshrrev_b32_e32 v158, 5, v139
	v_lshrrev_b32_e32 v159, 5, v105
	v_add_nc_u32_e32 v116, 0, v108
	v_add3_u32 v137, 0, v72, v108
	v_lshrrev_b32_e32 v160, 5, v106
	v_and_b32_e32 v162, 0xff, v136
	v_cmp_gt_u32_e64 s0, 0x60, v138
	v_lshl_add_u32 v70, v75, 4, v116
	v_fma_f64 v[80:81], v[24:25], 2.0, -v[82:83]
	v_lshl_add_u32 v24, v106, 4, v116
	v_lshl_add_u32 v25, v104, 4, v116
	v_fma_f64 v[14:15], v[0:1], 2.0, -v[16:17]
	v_fma_f64 v[18:19], v[8:9], 2.0, -v[20:21]
	;; [unrolled: 1-line block ×3, first 2 shown]
	v_sub_nc_u32_e32 v109, v24, v92
	v_sub_nc_u32_e32 v107, v25, v93
	v_fma_f64 v[92:93], v[2:3], 2.0, -v[94:95]
	v_fma_f64 v[76:77], v[4:5], 2.0, -v[78:79]
	v_fma_f64 v[100:101], v[6:7], 2.0, -v[102:103]
	v_fma_f64 v[117:118], v[26:27], 2.0, -v[119:120]
	v_fma_f64 v[34:35], v[28:29], 2.0, -v[36:37]
	v_fma_f64 v[30:31], v[30:31], 2.0, -v[32:33]
	v_fma_f64 v[84:85], v[40:41], 2.0, -v[86:87]
	v_fma_f64 v[66:67], v[56:57], 2.0, -v[68:69]
	v_fma_f64 v[88:89], v[52:53], 2.0, -v[90:91]
	v_fma_f64 v[62:63], v[48:49], 2.0, -v[64:65]
	v_fma_f64 v[42:43], v[42:43], 2.0, -v[44:45]
	v_fma_f64 v[58:59], v[58:59], 2.0, -v[60:61]
	v_fma_f64 v[126:127], v[54:55], 2.0, -v[128:129]
	v_fma_f64 v[130:131], v[50:51], 2.0, -v[132:133]
	v_lshlrev_b32_e32 v0, 3, v73
	v_lshl_add_u32 v28, v73, 4, v116
	v_lshlrev_b32_e32 v1, 3, v74
	v_lshlrev_b32_e32 v4, 3, v75
	v_lshl_add_u32 v8, v138, 4, v116
	v_lshl_add_u32 v29, v74, 4, v116
	v_add_nc_u32_e32 v122, v116, v72
	v_lshl_add_u32 v9, v136, 4, v116
	v_lshl_add_u32 v110, v105, 3, v116
	;; [unrolled: 1-line block ×4, first 2 shown]
	v_sub_nc_u32_e32 v112, v28, v0
	v_add_nc_u32_e32 v111, 0x1c00, v137
	v_sub_nc_u32_e32 v113, v29, v1
	v_sub_nc_u32_e32 v114, v70, v4
	v_lshl_add_u32 v123, v136, 3, v116
	ds_store_b128 v8, v[14:17]
	ds_store_b128 v9, v[18:21]
	;; [unrolled: 1-line block ×9, first 2 shown]
	global_wb scope:SCOPE_SE
	s_wait_dscnt 0x0
	s_wait_kmcnt 0x0
	s_barrier_signal -1
	s_barrier_wait -1
	global_inv scope:SCOPE_SE
	v_lshl_add_u32 v140, v139, 3, v116
	v_add_nc_u32_e32 v115, 0x2400, v137
	v_add_nc_u32_e32 v124, 0x2c00, v137
	;; [unrolled: 1-line block ×3, first 2 shown]
	ds_load_b64 v[38:39], v122
	ds_load_b64 v[40:41], v110
	;; [unrolled: 1-line block ×9, first 2 shown]
	ds_load_b64 v[64:65], v137 offset:15232
	ds_load_2addr_b64 v[0:3], v111 offset0:112 offset1:224
	ds_load_2addr_b64 v[4:7], v115 offset0:80 offset1:192
	;; [unrolled: 1-line block ×4, first 2 shown]
	global_wb scope:SCOPE_SE
	s_wait_dscnt 0x0
	s_barrier_signal -1
	s_barrier_wait -1
	global_inv scope:SCOPE_SE
	ds_store_b128 v8, v[92:95]
	ds_store_b128 v9, v[10:13]
	;; [unrolled: 1-line block ×5, first 2 shown]
	v_and_b32_e32 v117, 1, v138
	ds_store_b128 v25, v[42:45]
	ds_store_b128 v28, v[58:61]
	;; [unrolled: 1-line block ×4, first 2 shown]
	global_wb scope:SCOPE_SE
	s_wait_dscnt 0x0
	s_barrier_signal -1
	s_barrier_wait -1
	v_lshlrev_b32_e32 v8, 4, v117
	global_inv scope:SCOPE_SE
	v_and_b32_e32 v128, 7, v138
	v_lshrrev_b32_e32 v161, 5, v104
	s_mov_b32 s6, 0xe8584caa
	global_load_b128 v[8:11], v8, s[4:5]
	ds_load_2addr_b64 v[22:25], v111 offset0:112 offset1:224
	ds_load_2addr_b64 v[26:29], v115 offset0:80 offset1:192
	;; [unrolled: 1-line block ×4, first 2 shown]
	ds_load_b64 v[12:13], v137 offset:15232
	ds_load_b64 v[42:43], v123
	ds_load_b64 v[44:45], v122
	s_mov_b32 s7, 0xbfebb67a
	s_mov_b32 s9, 0x3febb67a
	s_wait_alu 0xfffe
	s_mov_b32 s8, s6
	s_wait_loadcnt_dscnt 0x6
	v_mul_f64_e32 v[58:59], v[22:23], v[10:11]
	s_wait_dscnt 0x5
	v_mul_f64_e32 v[68:69], v[28:29], v[10:11]
	s_wait_dscnt 0x4
	v_mul_f64_e32 v[70:71], v[30:31], v[10:11]
	v_mul_f64_e32 v[76:77], v[32:33], v[10:11]
	s_wait_dscnt 0x3
	v_mul_f64_e32 v[78:79], v[34:35], v[10:11]
	;; [unrolled: 3-line block ×3, first 2 shown]
	v_mul_f64_e32 v[66:67], v[26:27], v[10:11]
	v_mul_f64_e32 v[60:61], v[24:25], v[10:11]
	;; [unrolled: 1-line block ×11, first 2 shown]
	v_fma_f64 v[0:1], v[0:1], v[8:9], v[58:59]
	v_fma_f64 v[6:7], v[6:7], v[8:9], v[68:69]
	v_fma_f64 v[14:15], v[14:15], v[8:9], v[70:71]
	v_fma_f64 v[16:17], v[16:17], v[8:9], v[76:77]
	v_fma_f64 v[18:19], v[18:19], v[8:9], v[78:79]
	v_fma_f64 v[20:21], v[20:21], v[8:9], v[80:81]
	v_fma_f64 v[58:59], v[64:65], v[8:9], v[82:83]
	v_fma_f64 v[4:5], v[4:5], v[8:9], v[66:67]
	v_fma_f64 v[2:3], v[2:3], v[8:9], v[60:61]
	v_fma_f64 v[22:23], v[22:23], v[8:9], -v[84:85]
	v_fma_f64 v[24:25], v[24:25], v[8:9], -v[86:87]
	;; [unrolled: 1-line block ×9, first 2 shown]
	ds_load_b64 v[68:69], v140
	ds_load_b64 v[70:71], v110
	;; [unrolled: 1-line block ×7, first 2 shown]
	v_lshlrev_b32_e32 v8, 1, v106
	v_lshlrev_b32_e32 v91, 4, v121
	global_wb scope:SCOPE_SE
	s_wait_dscnt 0x0
	s_barrier_signal -1
	s_barrier_wait -1
	global_inv scope:SCOPE_SE
	v_add_f64_e64 v[11:12], v[38:39], -v[0:1]
	v_add_f64_e64 v[66:67], v[40:41], -v[6:7]
	;; [unrolled: 1-line block ×9, first 2 shown]
	v_lshlrev_b32_e32 v1, 1, v73
	v_add_f64_e64 v[72:73], v[44:45], -v[22:23]
	v_lshlrev_b32_e32 v2, 1, v74
	v_lshlrev_b32_e32 v3, 1, v75
	v_add_f64_e64 v[74:75], v[42:43], -v[24:25]
	v_add_f64_e64 v[25:26], v[68:69], -v[26:27]
	;; [unrolled: 1-line block ×8, first 2 shown]
	v_lshlrev_b32_e32 v7, 1, v105
	v_lshlrev_b32_e32 v0, 1, v104
	;; [unrolled: 1-line block ×5, first 2 shown]
	s_delay_alu instid0(VALU_DEP_3) | instskip(NEXT) | instid1(VALU_DEP_3)
	v_and_or_b32 v88, 0xfc, v4, v117
	v_and_or_b32 v89, 0x1fc, v5, v117
	s_delay_alu instid0(VALU_DEP_3) | instskip(NEXT) | instid1(VALU_DEP_3)
	v_and_or_b32 v90, 0x3fc, v6, v117
	v_lshl_add_u32 v88, v88, 3, v116
	s_delay_alu instid0(VALU_DEP_3) | instskip(NEXT) | instid1(VALU_DEP_3)
	v_lshl_add_u32 v89, v89, 3, v116
	v_lshl_add_u32 v90, v90, 3, v116
	v_fma_f64 v[9:10], v[38:39], 2.0, -v[11:12]
	v_fma_f64 v[37:38], v[40:41], 2.0, -v[66:67]
	v_and_or_b32 v41, 0x3fc, v7, v117
	v_fma_f64 v[39:40], v[46:47], 2.0, -v[13:14]
	v_fma_f64 v[46:47], v[48:49], 2.0, -v[15:16]
	;; [unrolled: 1-line block ×5, first 2 shown]
	v_and_or_b32 v54, 0x7fc, v8, v117
	v_and_or_b32 v55, 0x5fc, v0, v117
	v_fma_f64 v[23:24], v[56:57], 2.0, -v[64:65]
	v_and_or_b32 v56, 0x7fc, v1, v117
	v_and_or_b32 v57, 0x7fc, v2, v117
	v_fma_f64 v[21:22], v[62:63], 2.0, -v[60:61]
	v_and_or_b32 v62, 0x7fc, v3, v117
	v_fma_f64 v[44:45], v[44:45], 2.0, -v[72:73]
	v_lshl_add_u32 v92, v41, 3, v116
	v_fma_f64 v[41:42], v[42:43], 2.0, -v[74:75]
	v_lshl_add_u32 v93, v54, 3, v116
	v_lshl_add_u32 v94, v55, 3, v116
	v_fma_f64 v[54:55], v[68:69], 2.0, -v[25:26]
	v_lshl_add_u32 v95, v56, 3, v116
	v_lshl_add_u32 v100, v57, 3, v116
	v_fma_f64 v[56:57], v[70:71], 2.0, -v[27:28]
	v_lshl_add_u32 v101, v62, 3, v116
	v_fma_f64 v[62:63], v[76:77], 2.0, -v[29:30]
	v_fma_f64 v[68:69], v[78:79], 2.0, -v[31:32]
	;; [unrolled: 1-line block ×5, first 2 shown]
	ds_store_2addr_b64 v88, v[9:10], v[11:12] offset1:2
	ds_store_2addr_b64 v89, v[21:22], v[60:61] offset1:2
	;; [unrolled: 1-line block ×9, first 2 shown]
	global_wb scope:SCOPE_SE
	s_wait_dscnt 0x0
	s_barrier_signal -1
	s_barrier_wait -1
	global_inv scope:SCOPE_SE
	ds_load_b64 v[46:47], v122
	ds_load_b64 v[48:49], v110
	;; [unrolled: 1-line block ×9, first 2 shown]
	ds_load_b64 v[82:83], v137 offset:15232
	ds_load_2addr_b64 v[9:12], v111 offset0:112 offset1:224
	ds_load_2addr_b64 v[13:16], v115 offset0:80 offset1:192
	;; [unrolled: 1-line block ×4, first 2 shown]
	global_wb scope:SCOPE_SE
	s_wait_dscnt 0x0
	s_barrier_signal -1
	s_barrier_wait -1
	global_inv scope:SCOPE_SE
	ds_store_2addr_b64 v88, v[44:45], v[72:73] offset1:2
	ds_store_2addr_b64 v89, v[41:42], v[74:75] offset1:2
	;; [unrolled: 1-line block ×9, first 2 shown]
	global_wb scope:SCOPE_SE
	s_wait_dscnt 0x0
	s_barrier_signal -1
	s_barrier_wait -1
	global_inv scope:SCOPE_SE
	global_load_b128 v[25:28], v91, s[4:5] offset:32
	ds_load_2addr_b64 v[29:32], v111 offset0:112 offset1:224
	ds_load_2addr_b64 v[33:36], v115 offset0:80 offset1:192
	;; [unrolled: 1-line block ×4, first 2 shown]
	ds_load_b64 v[54:55], v137 offset:15232
	ds_load_b64 v[56:57], v123
	ds_load_b64 v[62:63], v122
	s_wait_loadcnt_dscnt 0x6
	v_mul_f64_e32 v[68:69], v[29:30], v[27:28]
	s_wait_dscnt 0x2
	v_mul_f64_e32 v[88:89], v[54:55], v[27:28]
	v_mul_f64_e32 v[74:75], v[35:36], v[27:28]
	;; [unrolled: 1-line block ×17, first 2 shown]
	v_fma_f64 v[9:10], v[9:10], v[25:26], v[68:69]
	v_fma_f64 v[68:69], v[82:83], v[25:26], v[88:89]
	;; [unrolled: 1-line block ×5, first 2 shown]
	v_fma_f64 v[29:30], v[29:30], v[25:26], -v[90:91]
	v_fma_f64 v[11:12], v[11:12], v[25:26], v[70:71]
	v_fma_f64 v[31:32], v[31:32], v[25:26], -v[92:93]
	v_fma_f64 v[13:14], v[13:14], v[25:26], v[72:73]
	v_fma_f64 v[33:34], v[33:34], v[25:26], -v[94:95]
	v_fma_f64 v[35:36], v[35:36], v[25:26], -v[100:101]
	v_fma_f64 v[37:38], v[37:38], v[25:26], -v[102:103]
	v_fma_f64 v[39:40], v[39:40], v[25:26], -v[117:118]
	v_fma_f64 v[21:22], v[21:22], v[25:26], v[84:85]
	v_fma_f64 v[41:42], v[41:42], v[25:26], -v[119:120]
	v_fma_f64 v[23:24], v[23:24], v[25:26], v[86:87]
	v_fma_f64 v[43:44], v[43:44], v[25:26], -v[126:127]
	v_fma_f64 v[25:26], v[54:55], v[25:26], -v[27:28]
	v_and_or_b32 v82, 0xf8, v4, v121
	v_and_or_b32 v83, 0x1f8, v5, v121
	;; [unrolled: 1-line block ×8, first 2 shown]
	v_lshlrev_b32_e32 v90, 4, v128
	v_lshl_add_u32 v91, v82, 3, v116
	v_lshl_add_u32 v92, v83, 3, v116
	;; [unrolled: 1-line block ×8, first 2 shown]
	v_add_f64_e64 v[9:10], v[46:47], -v[9:10]
	v_add_f64_e64 v[27:28], v[64:65], -v[68:69]
	ds_load_b64 v[54:55], v140
	ds_load_b64 v[68:69], v110
	;; [unrolled: 1-line block ×7, first 2 shown]
	v_add_f64_e64 v[15:16], v[48:49], -v[15:16]
	v_add_f64_e64 v[17:18], v[50:51], -v[17:18]
	;; [unrolled: 1-line block ×3, first 2 shown]
	s_wait_dscnt 0x7
	v_add_f64_e64 v[29:30], v[62:63], -v[29:30]
	v_add_f64_e64 v[11:12], v[80:81], -v[11:12]
	;; [unrolled: 1-line block ×4, first 2 shown]
	global_wb scope:SCOPE_SE
	s_wait_dscnt 0x0
	s_barrier_signal -1
	s_barrier_wait -1
	v_add_f64_e64 v[21:22], v[58:59], -v[21:22]
	global_inv scope:SCOPE_SE
	v_add_f64_e64 v[23:24], v[60:61], -v[23:24]
	v_add_f64_e64 v[33:34], v[54:55], -v[33:34]
	;; [unrolled: 1-line block ×8, first 2 shown]
	v_fma_f64 v[45:46], v[46:47], 2.0, -v[9:10]
	v_fma_f64 v[64:65], v[64:65], 2.0, -v[27:28]
	;; [unrolled: 1-line block ×5, first 2 shown]
	v_and_or_b32 v53, 0x3f8, v7, v121
	v_fma_f64 v[62:63], v[62:63], 2.0, -v[29:30]
	v_fma_f64 v[80:81], v[80:81], 2.0, -v[11:12]
	;; [unrolled: 1-line block ×4, first 2 shown]
	v_lshl_add_u32 v93, v53, 3, v116
	v_fma_f64 v[58:59], v[58:59], 2.0, -v[21:22]
	v_fma_f64 v[60:61], v[60:61], 2.0, -v[23:24]
	;; [unrolled: 1-line block ×9, first 2 shown]
	ds_store_2addr_b64 v91, v[45:46], v[9:10] offset1:4
	ds_store_2addr_b64 v92, v[80:81], v[11:12] offset1:4
	;; [unrolled: 1-line block ×9, first 2 shown]
	global_wb scope:SCOPE_SE
	s_wait_dscnt 0x0
	s_barrier_signal -1
	s_barrier_wait -1
	global_inv scope:SCOPE_SE
	ds_load_b64 v[45:46], v122
	ds_load_b64 v[47:48], v110
	ds_load_b64 v[49:50], v109
	ds_load_b64 v[51:52], v107
	ds_load_b64 v[58:59], v112
	ds_load_b64 v[60:61], v113
	ds_load_b64 v[64:65], v114
	ds_load_b64 v[66:67], v140
	ds_load_b64 v[80:81], v123
	ds_load_b64 v[82:83], v137 offset:15232
	ds_load_2addr_b64 v[9:12], v111 offset0:112 offset1:224
	ds_load_2addr_b64 v[13:16], v115 offset0:80 offset1:192
	ds_load_2addr_b64 v[17:20], v124 offset0:48 offset1:160
	ds_load_2addr_b64 v[21:24], v125 offset0:16 offset1:128
	global_wb scope:SCOPE_SE
	s_wait_dscnt 0x0
	s_barrier_signal -1
	s_barrier_wait -1
	global_inv scope:SCOPE_SE
	ds_store_2addr_b64 v91, v[62:63], v[29:30] offset1:4
	ds_store_2addr_b64 v92, v[56:57], v[31:32] offset1:4
	;; [unrolled: 1-line block ×9, first 2 shown]
	global_wb scope:SCOPE_SE
	s_wait_dscnt 0x0
	s_barrier_signal -1
	s_barrier_wait -1
	global_inv scope:SCOPE_SE
	global_load_b128 v[25:28], v90, s[4:5] offset:96
	ds_load_2addr_b64 v[29:32], v111 offset0:112 offset1:224
	ds_load_2addr_b64 v[33:36], v115 offset0:80 offset1:192
	;; [unrolled: 1-line block ×4, first 2 shown]
	ds_load_b64 v[53:54], v137 offset:15232
	ds_load_b64 v[55:56], v123
	ds_load_b64 v[62:63], v122
	s_wait_loadcnt_dscnt 0x6
	v_mul_f64_e32 v[68:69], v[29:30], v[27:28]
	s_wait_dscnt 0x2
	v_mul_f64_e32 v[88:89], v[53:54], v[27:28]
	v_mul_f64_e32 v[70:71], v[31:32], v[27:28]
	;; [unrolled: 1-line block ×17, first 2 shown]
	v_fma_f64 v[9:10], v[9:10], v[25:26], v[68:69]
	v_fma_f64 v[68:69], v[82:83], v[25:26], v[88:89]
	;; [unrolled: 1-line block ×9, first 2 shown]
	v_fma_f64 v[29:30], v[29:30], v[25:26], -v[90:91]
	v_fma_f64 v[31:32], v[31:32], v[25:26], -v[92:93]
	;; [unrolled: 1-line block ×9, first 2 shown]
	v_and_or_b32 v86, 0xf0, v4, v128
	v_and_or_b32 v87, 0x1f0, v5, v128
	;; [unrolled: 1-line block ×5, first 2 shown]
	v_lshl_add_u32 v92, v86, 3, v116
	v_lshl_add_u32 v93, v87, 3, v116
	;; [unrolled: 1-line block ×5, first 2 shown]
	v_add_f64_e64 v[27:28], v[45:46], -v[9:10]
	v_add_f64_e64 v[53:54], v[64:65], -v[68:69]
	ds_load_b64 v[68:69], v140
	ds_load_b64 v[70:71], v110
	;; [unrolled: 1-line block ×7, first 2 shown]
	v_add_f64_e64 v[10:11], v[80:81], -v[11:12]
	v_add_f64_e64 v[12:13], v[66:67], -v[13:14]
	;; [unrolled: 1-line block ×7, first 2 shown]
	s_wait_dscnt 0x7
	v_add_f64_e64 v[29:30], v[62:63], -v[29:30]
	v_add_f64_e64 v[31:32], v[55:56], -v[31:32]
	v_and_b32_e32 v9, 15, v138
	global_wb scope:SCOPE_SE
	s_wait_dscnt 0x0
	s_barrier_signal -1
	s_barrier_wait -1
	v_add_f64_e64 v[33:34], v[68:69], -v[33:34]
	v_add_f64_e64 v[35:36], v[70:71], -v[35:36]
	;; [unrolled: 1-line block ×7, first 2 shown]
	v_and_or_b32 v26, 0x3f0, v7, v128
	v_lshlrev_b32_e32 v91, 4, v9
	global_inv scope:SCOPE_SE
	v_and_or_b32 v2, 0x7e0, v2, v9
	v_and_or_b32 v3, 0x7e0, v3, v9
	v_lshl_add_u32 v26, v26, 3, v116
	s_delay_alu instid0(VALU_DEP_3) | instskip(NEXT) | instid1(VALU_DEP_3)
	v_lshl_add_u32 v131, v2, 3, v116
	v_lshl_add_u32 v132, v3, 3, v116
	v_fma_f64 v[24:25], v[45:46], 2.0, -v[27:28]
	v_fma_f64 v[64:65], v[64:65], 2.0, -v[53:54]
	;; [unrolled: 1-line block ×5, first 2 shown]
	v_and_or_b32 v80, 0x5f0, v0, v128
	v_and_or_b32 v81, 0x7f0, v1, v128
	v_fma_f64 v[57:58], v[58:59], 2.0, -v[20:21]
	v_fma_f64 v[59:60], v[60:61], 2.0, -v[22:23]
	v_and_or_b32 v61, 0x7f0, v8, v128
	v_fma_f64 v[55:56], v[55:56], 2.0, -v[31:32]
	v_fma_f64 v[49:50], v[49:50], 2.0, -v[16:17]
	;; [unrolled: 1-line block ×3, first 2 shown]
	v_lshl_add_u32 v95, v80, 3, v116
	v_lshl_add_u32 v94, v61, 3, v116
	v_fma_f64 v[61:62], v[62:63], 2.0, -v[29:30]
	v_fma_f64 v[68:69], v[68:69], 2.0, -v[33:34]
	;; [unrolled: 1-line block ×7, first 2 shown]
	v_lshl_add_u32 v100, v81, 3, v116
	v_fma_f64 v[80:81], v[82:83], 2.0, -v[84:85]
	ds_store_2addr_b64 v92, v[24:25], v[27:28] offset1:8
	ds_store_2addr_b64 v93, v[45:46], v[10:11] offset1:8
	;; [unrolled: 1-line block ×9, first 2 shown]
	global_wb scope:SCOPE_SE
	s_wait_dscnt 0x0
	s_barrier_signal -1
	s_barrier_wait -1
	global_inv scope:SCOPE_SE
	ds_load_b64 v[46:47], v122
	ds_load_b64 v[48:49], v110
	ds_load_b64 v[50:51], v109
	ds_load_b64 v[52:53], v107
	ds_load_b64 v[57:58], v112
	ds_load_b64 v[59:60], v113
	ds_load_b64 v[63:64], v114
	ds_load_b64 v[65:66], v140
	ds_load_b64 v[82:83], v123
	ds_load_b64 v[86:87], v137 offset:15232
	ds_load_2addr_b64 v[10:13], v111 offset0:112 offset1:224
	ds_load_2addr_b64 v[14:17], v115 offset0:80 offset1:192
	ds_load_2addr_b64 v[18:21], v124 offset0:48 offset1:160
	ds_load_2addr_b64 v[22:25], v125 offset0:16 offset1:128
	global_wb scope:SCOPE_SE
	s_wait_dscnt 0x0
	s_barrier_signal -1
	s_barrier_wait -1
	global_inv scope:SCOPE_SE
	ds_store_2addr_b64 v92, v[61:62], v[29:30] offset1:8
	ds_store_2addr_b64 v93, v[55:56], v[31:32] offset1:8
	;; [unrolled: 1-line block ×9, first 2 shown]
	global_wb scope:SCOPE_SE
	s_wait_dscnt 0x0
	s_barrier_signal -1
	s_barrier_wait -1
	global_inv scope:SCOPE_SE
	global_load_b128 v[26:29], v91, s[4:5] offset:224
	ds_load_2addr_b64 v[30:33], v111 offset0:112 offset1:224
	ds_load_2addr_b64 v[34:37], v115 offset0:80 offset1:192
	;; [unrolled: 1-line block ×4, first 2 shown]
	ds_load_b64 v[54:55], v137 offset:15232
	ds_load_b64 v[61:62], v123
	ds_load_b64 v[67:68], v122
	v_and_or_b32 v81, 0xe0, v4, v9
	v_and_or_b32 v0, 0x5e0, v0, v9
	;; [unrolled: 1-line block ×4, first 2 shown]
	s_delay_alu instid0(VALU_DEP_2)
	v_lshl_add_u32 v130, v1, 3, v116
	s_wait_loadcnt_dscnt 0x6
	v_mul_f64_e32 v[69:70], v[30:31], v[28:29]
	s_wait_dscnt 0x2
	v_mul_f64_e32 v[90:91], v[54:55], v[28:29]
	v_mul_f64_e32 v[92:93], v[10:11], v[28:29]
	;; [unrolled: 1-line block ×17, first 2 shown]
	v_fma_f64 v[10:11], v[10:11], v[26:27], v[69:70]
	v_fma_f64 v[69:70], v[86:87], v[26:27], v[90:91]
	v_fma_f64 v[30:31], v[30:31], v[26:27], -v[92:93]
	v_fma_f64 v[12:13], v[12:13], v[26:27], v[71:72]
	v_fma_f64 v[32:33], v[32:33], v[26:27], -v[94:95]
	;; [unrolled: 2-line block ×8, first 2 shown]
	v_fma_f64 v[26:27], v[54:55], v[26:27], -v[28:29]
	v_and_or_b32 v84, 0x1e0, v5, v9
	v_and_or_b32 v85, 0x3e0, v6, v9
	;; [unrolled: 1-line block ×3, first 2 shown]
	v_lshl_add_u32 v129, v0, 3, v116
	v_lshl_add_u32 v128, v8, 3, v116
	;; [unrolled: 1-line block ×5, first 2 shown]
	v_and_b32_e32 v117, 31, v136
	v_and_b32_e32 v118, 31, v138
	v_lshl_add_u32 v103, v81, 3, v116
	v_and_b32_e32 v119, 31, v105
	v_and_b32_e32 v120, 31, v104
	v_lshlrev_b32_e32 v100, 5, v117
	v_lshlrev_b32_e32 v101, 5, v118
	s_delay_alu instid0(VALU_DEP_4)
	v_lshlrev_b32_e32 v102, 5, v119
	v_add_f64_e64 v[10:11], v[46:47], -v[10:11]
	v_add_f64_e64 v[28:29], v[63:64], -v[69:70]
	ds_load_b64 v[54:55], v140
	ds_load_b64 v[69:70], v110
	;; [unrolled: 1-line block ×7, first 2 shown]
	s_wait_dscnt 0x7
	v_add_f64_e64 v[4:5], v[67:68], -v[30:31]
	v_add_f64_e64 v[12:13], v[82:83], -v[12:13]
	v_add_f64_e64 v[6:7], v[61:62], -v[32:33]
	v_add_f64_e64 v[14:15], v[65:66], -v[14:15]
	v_add_f64_e64 v[16:17], v[48:49], -v[16:17]
	global_wb scope:SCOPE_SE
	s_wait_dscnt 0x0
	v_add_f64_e64 v[18:19], v[50:51], -v[18:19]
	s_barrier_signal -1
	v_add_f64_e64 v[20:21], v[52:53], -v[20:21]
	s_barrier_wait -1
	v_add_f64_e64 v[22:23], v[57:58], -v[22:23]
	global_inv scope:SCOPE_SE
	v_add_f64_e64 v[24:25], v[59:60], -v[24:25]
	v_add_f64_e64 v[30:31], v[54:55], -v[34:35]
	;; [unrolled: 1-line block ×8, first 2 shown]
	v_fma_f64 v[42:43], v[46:47], 2.0, -v[10:11]
	v_fma_f64 v[63:64], v[63:64], 2.0, -v[28:29]
	;; [unrolled: 1-line block ×18, first 2 shown]
	ds_store_2addr_b64 v103, v[42:43], v[10:11] offset1:16
	ds_store_2addr_b64 v121, v[44:45], v[12:13] offset1:16
	;; [unrolled: 1-line block ×9, first 2 shown]
	global_wb scope:SCOPE_SE
	s_wait_dscnt 0x0
	s_barrier_signal -1
	s_barrier_wait -1
	global_inv scope:SCOPE_SE
	ds_load_b64 v[70:71], v122
	ds_load_2addr_b64 v[48:51], v115 offset0:80 offset1:192
	ds_load_b64 v[92:93], v113
	ds_load_b64 v[80:81], v114
	;; [unrolled: 1-line block ×8, first 2 shown]
	ds_load_b64 v[82:83], v137 offset:15232
	ds_load_2addr_b64 v[60:63], v124 offset0:48 offset1:160
	ds_load_2addr_b64 v[52:55], v111 offset0:112 offset1:224
	;; [unrolled: 1-line block ×3, first 2 shown]
	global_wb scope:SCOPE_SE
	s_wait_dscnt 0x0
	s_barrier_signal -1
	s_barrier_wait -1
	global_inv scope:SCOPE_SE
	ds_store_2addr_b64 v103, v[0:1], v[4:5] offset1:16
	ds_store_2addr_b64 v121, v[2:3], v[6:7] offset1:16
	;; [unrolled: 1-line block ×9, first 2 shown]
	global_wb scope:SCOPE_SE
	s_wait_dscnt 0x0
	s_barrier_signal -1
	s_barrier_wait -1
	global_inv scope:SCOPE_SE
	s_clause 0x1
	global_load_b128 v[8:11], v100, s[4:5] offset:496
	global_load_b128 v[0:3], v101, s[4:5] offset:496
	v_lshlrev_b32_e32 v28, 5, v120
	s_clause 0x5
	global_load_b128 v[4:7], v102, s[4:5] offset:496
	global_load_b128 v[12:15], v28, s[4:5] offset:480
	;; [unrolled: 1-line block ×6, first 2 shown]
	ds_load_2addr_b64 v[44:47], v124 offset0:48 offset1:160
	ds_load_2addr_b64 v[36:39], v125 offset0:16 offset1:128
	;; [unrolled: 1-line block ×4, first 2 shown]
	ds_load_b64 v[86:87], v113
	ds_load_b64 v[90:91], v112
	;; [unrolled: 1-line block ×3, first 2 shown]
	ds_load_b64 v[84:85], v137 offset:15232
	ds_load_b64 v[76:77], v107
	v_lshrrev_b32_e32 v121, 5, v138
	ds_load_b64 v[78:79], v140
	ds_load_b64 v[100:101], v123
	ds_load_b64 v[102:103], v122
	s_wait_loadcnt_dscnt 0x70b
	v_mul_f64_e32 v[126:127], v[44:45], v[10:11]
	s_wait_loadcnt 0x6
	v_mul_f64_e32 v[128:129], v[46:47], v[2:3]
	s_wait_loadcnt_dscnt 0x50a
	v_mul_f64_e32 v[130:131], v[36:37], v[6:7]
	s_wait_dscnt 0x9
	v_mul_f64_e32 v[134:135], v[34:35], v[2:3]
	s_wait_loadcnt_dscnt 0x208
	v_mul_f64_e32 v[145:146], v[42:43], v[18:19]
	s_wait_dscnt 0x6
	v_mul_f64_e32 v[149:150], v[90:91], v[18:19]
	v_mul_f64_e32 v[132:133], v[38:39], v[2:3]
	;; [unrolled: 1-line block ×3, first 2 shown]
	s_wait_loadcnt_dscnt 0x4
	v_mul_f64_e32 v[153:154], v[84:85], v[30:31]
	v_mul_f64_e32 v[10:11], v[60:61], v[10:11]
	;; [unrolled: 1-line block ×11, first 2 shown]
	v_fma_f64 v[60:61], v[60:61], v[8:9], v[126:127]
	v_fma_f64 v[62:63], v[62:63], v[0:1], v[128:129]
	v_mul_f64_e32 v[126:127], v[58:59], v[2:3]
	v_mul_f64_e32 v[2:3], v[50:51], v[2:3]
	;; [unrolled: 1-line block ×3, first 2 shown]
	v_fma_f64 v[56:57], v[56:57], v[4:5], v[130:131]
	v_fma_f64 v[130:131], v[54:55], v[16:17], v[145:146]
	v_mul_f64_e32 v[54:55], v[54:55], v[18:19]
	v_mul_f64_e32 v[18:19], v[80:81], v[18:19]
	v_fma_f64 v[50:51], v[50:51], v[0:1], v[134:135]
	v_fma_f64 v[94:95], v[94:95], v[16:17], v[149:150]
	;; [unrolled: 1-line block ×8, first 2 shown]
	v_fma_f64 v[8:9], v[44:45], v[8:9], -v[10:11]
	v_fma_f64 v[10:11], v[86:87], v[24:25], -v[26:27]
	;; [unrolled: 1-line block ×7, first 2 shown]
	v_mul_u32_u24_e32 v148, 0xaaab, v165
	v_and_b32_e32 v82, 0xffff, v104
	v_mul_u32_u24_e32 v83, 0x60, v121
	v_mul_lo_u32 v121, 0x60, v157
	v_mul_u32_u24_e32 v146, 0xaaab, v163
	v_lshrrev_b32_e32 v163, 22, v148
	v_add_nc_u32_e32 v132, 0xffffffa0, v138
	v_mul_u32_u24_e32 v147, 0xaaab, v164
	v_mul_lo_u32 v141, 0x60, v158
	v_mul_u32_u24_e32 v82, 0xaaab, v82
	v_mul_lo_u32 v142, 0x60, v159
	v_mul_lo_u32 v143, 0x60, v160
	v_mul_lo_u16 v145, 0xab, v162
	v_cndmask_b32_e64 v159, v132, v138, s0
	v_lshrrev_b32_e32 v162, 22, v147
	v_or_b32_e32 v83, v83, v118
	v_lshrrev_b32_e32 v164, 22, v82
	v_fma_f64 v[2:3], v[34:35], v[0:1], -v[2:3]
	v_fma_f64 v[34:35], v[90:91], v[16:17], -v[128:129]
	;; [unrolled: 1-line block ×3, first 2 shown]
	v_or_b32_e32 v82, v121, v117
	v_mul_lo_u32 v144, 0x60, v161
	v_fma_f64 v[18:19], v[88:89], v[16:17], -v[18:19]
	v_fma_f64 v[16:17], v[42:43], v[16:17], -v[54:55]
	v_mul_lo_u16 v42, 0x60, v163
	v_add_f64_e32 v[20:21], v[94:95], v[50:51]
	v_add_f64_e32 v[32:33], v[48:49], v[134:135]
	;; [unrolled: 1-line block ×3, first 2 shown]
	v_or_b32_e32 v117, v141, v118
	v_add_f64_e32 v[28:29], v[52:53], v[56:57]
	v_add_f64_e32 v[26:27], v[80:81], v[62:63]
	;; [unrolled: 1-line block ×3, first 2 shown]
	v_sub_nc_u16 v141, v106, v42
	v_add_f64_e32 v[42:43], v[70:71], v[94:95]
	v_add_f64_e32 v[54:55], v[10:11], v[8:9]
	v_dual_mov_b32 v133, 0 :: v_dual_lshlrev_b32 v132, 1, v159
	v_mul_lo_u16 v41, 0x60, v162
	v_lshl_add_u32 v126, v83, 3, v116
	v_lshl_add_u32 v128, v82, 3, v116
	v_add_f64_e32 v[82:83], v[74:75], v[92:93]
	v_or_b32_e32 v119, v142, v119
	v_or_b32_e32 v118, v143, v118
	v_add_f64_e32 v[88:89], v[6:7], v[4:5]
	v_lshlrev_b64_e32 v[36:37], 4, v[132:133]
	v_sub_nc_u16 v133, v105, v41
	v_lshrrev_b16 v160, 14, v145
	v_or_b32_e32 v38, v144, v120
	v_lshl_add_u32 v143, v119, 3, v116
	v_lshl_add_u32 v144, v118, 3, v116
	v_add_f64_e32 v[118:119], v[12:13], v[14:15]
	v_lshrrev_b32_e32 v161, 22, v146
	v_mul_lo_u16 v39, 0x60, v160
	v_lshl_add_u32 v145, v38, 3, v116
	v_add_f64_e32 v[86:87], v[72:73], v[80:81]
	v_add_f64_e32 v[120:121], v[66:67], v[48:49]
	v_add_f64_e32 v[44:45], v[34:35], v[2:3]
	v_mul_lo_u16 v40, 0x60, v161
	v_sub_nc_u16 v39, v136, v39
	v_add_f64_e64 v[46:47], v[34:35], -v[2:3]
	v_add_f64_e32 v[84:85], v[18:19], v[24:25]
	v_add_f64_e32 v[105:106], v[16:17], v[0:1]
	v_sub_nc_u16 v132, v139, v40
	v_and_b32_e32 v165, 0xff, v39
	ds_load_b64 v[38:39], v110
	ds_load_b64 v[40:41], v109
	v_fma_f64 v[20:21], v[20:21], -0.5, v[70:71]
	v_fma_f64 v[32:33], v[32:33], -0.5, v[66:67]
	v_add_f64_e64 v[66:67], v[94:95], -v[50:51]
	s_wait_dscnt 0x2
	v_add_f64_e32 v[34:35], v[102:103], v[34:35]
	v_add_f64_e64 v[70:71], v[10:11], -v[8:9]
	v_fma_f64 v[22:23], v[22:23], -0.5, v[74:75]
	v_lshl_add_u32 v129, v117, 3, v116
	v_add_f64_e32 v[90:91], v[68:69], v[52:53]
	v_add_f64_e32 v[116:117], v[64:65], v[130:131]
	v_add_f64_e64 v[74:75], v[18:19], -v[24:25]
	v_fma_f64 v[26:27], v[26:27], -0.5, v[72:73]
	v_add_f64_e64 v[72:73], v[6:7], -v[4:5]
	v_fma_f64 v[28:29], v[28:29], -0.5, v[68:69]
	;; [unrolled: 2-line block ×3, first 2 shown]
	v_add_f64_e64 v[64:65], v[12:13], -v[14:15]
	v_add_f64_e64 v[92:93], v[92:93], -v[60:61]
	v_add_f64_e32 v[10:11], v[100:101], v[10:11]
	v_add_f64_e32 v[42:43], v[42:43], v[50:51]
	v_fma_f64 v[50:51], v[54:55], -0.5, v[100:101]
	v_add_f64_e64 v[80:81], v[80:81], -v[62:63]
	v_add_f64_e32 v[18:19], v[78:79], v[18:19]
	v_add_f64_e32 v[54:55], v[82:83], v[60:61]
	v_add_f64_e64 v[52:53], v[52:53], -v[56:57]
	s_wait_dscnt 0x1
	v_add_f64_e32 v[6:7], v[38:39], v[6:7]
	v_fma_f64 v[38:39], v[88:89], -0.5, v[38:39]
	v_add_f64_e64 v[94:95], v[130:131], -v[58:59]
	s_wait_dscnt 0x0
	v_add_f64_e32 v[16:17], v[40:41], v[16:17]
	v_add_f64_e64 v[48:49], v[48:49], -v[134:135]
	v_fma_f64 v[44:45], v[44:45], -0.5, v[102:103]
	v_add_f64_e32 v[12:13], v[76:77], v[12:13]
	v_fma_f64 v[76:77], v[118:119], -0.5, v[76:77]
	v_add_f64_e32 v[62:63], v[86:87], v[62:63]
	v_fma_f64 v[60:61], v[84:85], -0.5, v[78:79]
	v_fma_f64 v[40:41], v[105:106], -0.5, v[40:41]
	v_add_f64_e32 v[78:79], v[120:121], v[134:135]
	v_mul_lo_u16 v127, 0x60, v164
	v_and_b32_e32 v167, 0xffff, v133
	v_fma_f64 v[82:83], v[46:47], s[6:7], v[20:21]
	s_wait_alu 0xfffe
	v_fma_f64 v[20:21], v[46:47], s[8:9], v[20:21]
	v_and_b32_e32 v166, 0xffff, v132
	v_add_f64_e32 v[34:35], v[34:35], v[2:3]
	v_and_b32_e32 v168, 0xffff, v141
	v_fma_f64 v[46:47], v[70:71], s[6:7], v[22:23]
	v_fma_f64 v[22:23], v[70:71], s[8:9], v[22:23]
	v_add_f64_e32 v[56:57], v[90:91], v[56:57]
	v_add_f64_e32 v[58:59], v[116:117], v[58:59]
	global_wb scope:SCOPE_SE
	v_fma_f64 v[70:71], v[74:75], s[6:7], v[26:27]
	v_fma_f64 v[26:27], v[74:75], s[8:9], v[26:27]
	;; [unrolled: 1-line block ×8, first 2 shown]
	v_add_f64_e32 v[64:65], v[10:11], v[8:9]
	s_barrier_signal -1
	s_barrier_wait -1
	v_add_f64_e32 v[18:19], v[18:19], v[24:25]
	global_inv scope:SCOPE_SE
	ds_store_2addr_b64 v126, v[42:43], v[82:83] offset1:32
	ds_store_b64 v126, v[20:21] offset:512
	ds_store_2addr_b64 v128, v[54:55], v[46:47] offset1:32
	ds_store_b64 v128, v[22:23] offset:512
	;; [unrolled: 2-line block ×6, first 2 shown]
	v_fma_f64 v[86:87], v[66:67], s[8:9], v[44:45]
	v_fma_f64 v[44:45], v[66:67], s[6:7], v[44:45]
	;; [unrolled: 1-line block ×6, first 2 shown]
	v_add_f64_e32 v[24:25], v[6:7], v[4:5]
	v_fma_f64 v[80:81], v[52:53], s[8:9], v[38:39]
	v_fma_f64 v[38:39], v[52:53], s[6:7], v[38:39]
	v_add_f64_e32 v[16:17], v[16:17], v[0:1]
	v_fma_f64 v[52:53], v[94:95], s[8:9], v[40:41]
	v_fma_f64 v[40:41], v[94:95], s[6:7], v[40:41]
	;; [unrolled: 3-line block ×3, first 2 shown]
	v_sub_nc_u16 v26, v104, v127
	global_wb scope:SCOPE_SE
	s_wait_dscnt 0x0
	s_barrier_signal -1
	s_barrier_wait -1
	global_inv scope:SCOPE_SE
	ds_load_b64 v[94:95], v122
	ds_load_b64 v[42:43], v113
	;; [unrolled: 1-line block ×9, first 2 shown]
	ds_load_b64 v[141:142], v137 offset:15232
	ds_load_2addr_b64 v[0:3], v115 offset0:80 offset1:192
	ds_load_2addr_b64 v[4:7], v124 offset0:48 offset1:160
	;; [unrolled: 1-line block ×4, first 2 shown]
	global_wb scope:SCOPE_SE
	s_wait_dscnt 0x0
	s_barrier_signal -1
	s_barrier_wait -1
	global_inv scope:SCOPE_SE
	ds_store_2addr_b64 v126, v[34:35], v[86:87] offset1:32
	ds_store_b64 v126, v[44:45] offset:512
	ds_store_2addr_b64 v128, v[64:65], v[66:67] offset1:32
	ds_store_b64 v128, v[50:51] offset:512
	;; [unrolled: 2-line block ×6, first 2 shown]
	v_add_co_u32 v24, s0, s4, v36
	v_lshlrev_b32_e32 v100, 5, v165
	v_lshlrev_b32_e32 v102, 5, v167
	s_wait_alu 0xf1ff
	v_add_co_ci_u32_e64 v25, s0, s5, v37, s0
	v_lshlrev_b32_e32 v101, 5, v166
	v_lshlrev_b32_e32 v103, 5, v168
	v_and_b32_e32 v169, 0xffff, v26
	global_wb scope:SCOPE_SE
	s_wait_dscnt 0x0
	s_barrier_signal -1
	s_barrier_wait -1
	global_inv scope:SCOPE_SE
	s_clause 0x8
	global_load_b128 v[16:19], v100, s[4:5] offset:1520
	global_load_b128 v[20:23], v101, s[4:5] offset:1520
	;; [unrolled: 1-line block ×6, first 2 shown]
	global_load_b128 v[44:47], v[24:25], off offset:1504
	global_load_b128 v[78:81], v100, s[4:5] offset:1504
	global_load_b128 v[48:51], v[24:25], off offset:1520
	v_lshlrev_b32_e32 v24, 5, v169
	s_clause 0x2
	global_load_b128 v[82:85], v101, s[4:5] offset:1504
	global_load_b128 v[86:89], v24, s[4:5] offset:1504
	;; [unrolled: 1-line block ×3, first 2 shown]
	ds_load_2addr_b64 v[100:103], v124 offset0:48 offset1:160
	ds_load_2addr_b64 v[116:119], v111 offset0:112 offset1:224
	;; [unrolled: 1-line block ×3, first 2 shown]
	ds_load_b64 v[64:65], v112
	ds_load_b64 v[143:144], v113
	;; [unrolled: 1-line block ×3, first 2 shown]
	ds_load_2addr_b64 v[111:114], v115 offset0:80 offset1:192
	ds_load_b64 v[147:148], v137 offset:15232
	ds_load_b64 v[24:25], v107
	v_cmp_lt_u32_e64 s0, 0x5f, v138
	ds_load_b64 v[26:27], v123
	ds_load_b64 v[28:29], v122
	s_wait_loadcnt_dscnt 0xb0a
	v_mul_f64_e32 v[30:31], v[100:101], v[18:19]
	s_wait_loadcnt 0xa
	v_mul_f64_e32 v[32:33], v[102:103], v[22:23]
	s_wait_loadcnt_dscnt 0x909
	v_mul_f64_e32 v[36:37], v[116:117], v[58:59]
	s_wait_loadcnt 0x8
	v_mul_f64_e32 v[38:39], v[118:119], v[68:69]
	;; [unrolled: 4-line block ×3, first 2 shown]
	s_wait_loadcnt_dscnt 0x507
	v_mul_f64_e32 v[60:61], v[64:65], v[46:47]
	s_wait_loadcnt_dscnt 0x304
	v_mul_f64_e32 v[151:152], v[113:114], v[50:51]
	v_mul_f64_e32 v[149:150], v[143:144], v[80:81]
	s_wait_loadcnt 0x2
	v_mul_f64_e32 v[153:154], v[145:146], v[84:85]
	s_wait_loadcnt 0x1
	v_mul_f64_e32 v[155:156], v[111:112], v[88:89]
	s_wait_loadcnt_dscnt 0x3
	v_mul_f64_e32 v[157:158], v[147:148], v[92:93]
	v_mul_f64_e32 v[18:19], v[4:5], v[18:19]
	v_fma_f64 v[34:35], v[4:5], v[16:17], v[30:31]
	v_fma_f64 v[30:31], v[6:7], v[20:21], v[32:33]
	v_mul_f64_e32 v[4:5], v[6:7], v[22:23]
	v_mul_f64_e32 v[6:7], v[8:9], v[58:59]
	v_fma_f64 v[36:37], v[8:9], v[56:57], v[36:37]
	v_fma_f64 v[32:33], v[10:11], v[66:67], v[38:39]
	;; [unrolled: 4-line block ×3, first 2 shown]
	v_mul_f64_e32 v[12:13], v[14:15], v[76:77]
	v_mul_f64_e32 v[14:15], v[54:55], v[46:47]
	v_fma_f64 v[58:59], v[54:55], v[44:45], v[60:61]
	v_mul_f64_e32 v[22:23], v[2:3], v[50:51]
	v_fma_f64 v[60:61], v[2:3], v[48:49], v[151:152]
	v_fma_f64 v[52:53], v[42:43], v[78:79], v[149:150]
	v_mul_f64_e32 v[2:3], v[42:43], v[80:81]
	v_fma_f64 v[54:55], v[62:63], v[82:83], v[153:154]
	v_mul_f64_e32 v[72:73], v[62:63], v[84:85]
	;; [unrolled: 2-line block ×3, first 2 shown]
	v_mul_f64_e32 v[80:81], v[141:142], v[92:93]
	v_fma_f64 v[50:51], v[141:142], v[90:91], v[157:158]
	v_fma_f64 v[46:47], v[100:101], v[16:17], -v[18:19]
	v_lshlrev_b32_e32 v93, 3, v159
	v_fma_f64 v[66:67], v[118:119], v[66:67], -v[8:9]
	v_add_f64_e32 v[8:9], v[36:37], v[40:41]
	v_fma_f64 v[62:63], v[64:65], v[44:45], -v[14:15]
	v_fma_f64 v[64:65], v[116:117], v[56:57], -v[6:7]
	;; [unrolled: 1-line block ×4, first 2 shown]
	v_add_f64_e32 v[4:5], v[58:59], v[60:61]
	v_fma_f64 v[68:69], v[143:144], v[78:79], -v[2:3]
	v_add_f64_e32 v[2:3], v[52:53], v[34:35]
	v_fma_f64 v[72:73], v[145:146], v[82:83], -v[72:73]
	;; [unrolled: 2-line block ×3, first 2 shown]
	v_fma_f64 v[70:71], v[128:129], v[74:75], -v[12:13]
	v_fma_f64 v[76:77], v[111:112], v[86:87], -v[0:1]
	v_add_f64_e32 v[0:1], v[32:33], v[38:39]
	v_fma_f64 v[74:75], v[147:148], v[90:91], -v[80:81]
	v_add_f64_e32 v[10:11], v[42:43], v[50:51]
	v_add_f64_e32 v[12:13], v[94:95], v[58:59]
	;; [unrolled: 1-line block ×7, first 2 shown]
	s_wait_alu 0xf1ff
	v_cndmask_b32_e64 v78, 0, 0x900, s0
	v_lshlrev_b32_e32 v117, 3, v169
	v_cmp_gt_u32_e64 s0, 64, v138
	s_delay_alu instid0(VALU_DEP_3)
	v_add_nc_u32_e32 v84, 0, v78
	ds_load_b64 v[78:79], v140
	v_add3_u32 v84, v84, v93, v108
	v_fma_f64 v[8:9], v[8:9], -0.5, v[105:106]
	v_add_f64_e64 v[14:15], v[62:63], -v[44:45]
	v_fma_f64 v[4:5], v[4:5], -0.5, v[94:95]
	v_add_f64_e64 v[82:83], v[68:69], -v[46:47]
	;; [unrolled: 2-line block ×4, first 2 shown]
	v_add_f64_e64 v[89:90], v[66:67], -v[70:71]
	v_fma_f64 v[0:1], v[0:1], -0.5, v[120:121]
	v_add_f64_e64 v[91:92], v[76:77], -v[74:75]
	v_fma_f64 v[10:11], v[10:11], -0.5, v[130:131]
	v_add_f64_e32 v[12:13], v[12:13], v[60:61]
	v_add_f64_e32 v[16:17], v[16:17], v[34:35]
	v_add_f64_e32 v[18:19], v[18:19], v[30:31]
	v_add_f64_e32 v[20:21], v[20:21], v[40:41]
	v_add_f64_e32 v[22:23], v[22:23], v[38:39]
	v_add_f64_e32 v[102:103], v[80:81], v[50:51]
	v_lshlrev_b32_e32 v81, 3, v165
	v_mad_u32_u24 v80, 0x900, v164, 0
	v_fma_f64 v[94:95], v[14:15], s[6:7], v[4:5]
	v_fma_f64 v[4:5], v[14:15], s[8:9], v[4:5]
	;; [unrolled: 1-line block ×12, first 2 shown]
	v_and_b32_e32 v0, 0xffff, v160
	v_mad_u32_u24 v1, 0x900, v161, 0
	v_lshlrev_b32_e32 v82, 3, v166
	v_mad_u32_u24 v10, 0x900, v162, 0
	v_mad_u32_u24 v11, 0x900, v163, 0
	;; [unrolled: 1-line block ×3, first 2 shown]
	v_lshlrev_b32_e32 v83, 3, v167
	v_lshlrev_b32_e32 v89, 3, v168
	v_add_nc_u32_e32 v85, 0x800, v137
	v_add_nc_u32_e32 v86, 0x1000, v137
	v_add3_u32 v93, v0, v81, v108
	v_add_nc_u32_e32 v87, 0x1800, v137
	v_add3_u32 v92, v1, v82, v108
	;; [unrolled: 2-line block ×3, first 2 shown]
	v_add3_u32 v90, v11, v89, v108
	v_add3_u32 v89, v80, v117, v108
	ds_load_b64 v[82:83], v110
	ds_load_b64 v[80:81], v109
	global_wb scope:SCOPE_SE
	s_wait_dscnt 0x0
	s_barrier_signal -1
	s_barrier_wait -1
	global_inv scope:SCOPE_SE
	ds_store_2addr_b64 v84, v[12:13], v[94:95] offset1:96
	ds_store_b64 v84, v[4:5] offset:1536
	ds_store_2addr_b64 v93, v[16:17], v[14:15] offset1:96
	ds_store_b64 v93, v[2:3] offset:1536
	;; [unrolled: 2-line block ×6, first 2 shown]
	global_wb scope:SCOPE_SE
	s_wait_dscnt 0x0
	s_barrier_signal -1
	s_barrier_wait -1
	global_inv scope:SCOPE_SE
	ds_load_b64 v[130:131], v122
	ds_load_b64 v[128:129], v123
	ds_load_2addr_b64 v[8:11], v85 offset0:32 offset1:144
	ds_load_2addr_b64 v[12:15], v86 offset0:64 offset1:176
	;; [unrolled: 1-line block ×6, first 2 shown]
                                        ; implicit-def: $vgpr112_vgpr113
                                        ; implicit-def: $vgpr110_vgpr111
                                        ; implicit-def: $vgpr108_vgpr109
	s_and_saveexec_b32 s1, s0
	s_cbranch_execz .LBB0_15
; %bb.14:
	ds_load_b64 v[102:103], v137 offset:4096
	ds_load_b64 v[106:107], v137 offset:6400
	;; [unrolled: 1-line block ×5, first 2 shown]
	ds_load_b64 v[100:101], v140
	ds_load_b64 v[112:113], v137 offset:15616
.LBB0_15:
	s_wait_alu 0xfffe
	s_or_b32 exec_lo, exec_lo, s1
	v_add_f64_e32 v[94:95], v[62:63], v[44:45]
	v_add_f64_e32 v[114:115], v[68:69], v[46:47]
	;; [unrolled: 1-line block ×7, first 2 shown]
	v_add_f64_e64 v[58:59], v[58:59], -v[60:61]
	v_add_f64_e32 v[64:65], v[82:83], v[64:65]
	v_add_f64_e32 v[60:61], v[26:27], v[68:69]
	v_add_f64_e64 v[34:35], v[52:53], -v[34:35]
	v_add_f64_e32 v[68:69], v[78:79], v[72:73]
	v_add_f64_e64 v[30:31], v[54:55], -v[30:31]
	v_add_f64_e64 v[36:37], v[36:37], -v[40:41]
	v_add_f64_e32 v[66:67], v[80:81], v[66:67]
	v_add_f64_e64 v[32:33], v[32:33], -v[38:39]
	v_add_f64_e32 v[72:73], v[24:25], v[76:77]
	v_add_f64_e64 v[42:43], v[42:43], -v[50:51]
	global_wb scope:SCOPE_SE
	s_wait_dscnt 0x0
	s_barrier_signal -1
	s_barrier_wait -1
	global_inv scope:SCOPE_SE
	v_fma_f64 v[28:29], v[94:95], -0.5, v[28:29]
	v_fma_f64 v[26:27], v[114:115], -0.5, v[26:27]
	v_fma_f64 v[52:53], v[116:117], -0.5, v[78:79]
	v_fma_f64 v[40:41], v[118:119], -0.5, v[82:83]
	v_fma_f64 v[38:39], v[120:121], -0.5, v[80:81]
	v_fma_f64 v[24:25], v[126:127], -0.5, v[24:25]
	v_add_f64_e32 v[44:45], v[62:63], v[44:45]
                                        ; implicit-def: $vgpr126_vgpr127
	v_add_f64_e32 v[50:51], v[64:65], v[56:57]
	v_add_f64_e32 v[46:47], v[60:61], v[46:47]
	;; [unrolled: 1-line block ×5, first 2 shown]
	v_fma_f64 v[56:57], v[58:59], s[8:9], v[28:29]
	v_fma_f64 v[28:29], v[58:59], s[6:7], v[28:29]
	;; [unrolled: 1-line block ×12, first 2 shown]
	ds_store_2addr_b64 v84, v[44:45], v[56:57] offset1:96
	ds_store_b64 v84, v[28:29] offset:1536
	ds_store_2addr_b64 v93, v[46:47], v[58:59] offset1:96
	ds_store_b64 v93, v[26:27] offset:1536
	;; [unrolled: 2-line block ×6, first 2 shown]
	global_wb scope:SCOPE_SE
	s_wait_dscnt 0x0
	s_barrier_signal -1
	s_barrier_wait -1
	global_inv scope:SCOPE_SE
	ds_load_2addr_b64 v[40:43], v85 offset0:32 offset1:144
	ds_load_2addr_b64 v[36:39], v86 offset0:64 offset1:176
	;; [unrolled: 1-line block ×6, first 2 shown]
	ds_load_b64 v[134:135], v122
	ds_load_b64 v[132:133], v123
                                        ; implicit-def: $vgpr124_vgpr125
                                        ; implicit-def: $vgpr122_vgpr123
	s_and_saveexec_b32 s1, s0
	s_cbranch_execz .LBB0_17
; %bb.16:
	ds_load_b64 v[116:117], v137 offset:4096
	ds_load_b64 v[120:121], v137 offset:6400
	;; [unrolled: 1-line block ×5, first 2 shown]
	ds_load_b64 v[114:115], v140
	ds_load_b64 v[126:127], v137 offset:15616
.LBB0_17:
	s_wait_alu 0xfffe
	s_or_b32 exec_lo, exec_lo, s1
	s_and_saveexec_b32 s1, vcc_lo
	s_cbranch_execz .LBB0_20
; %bb.18:
	v_mul_u32_u24_e32 v48, 6, v138
	v_mul_i32_i24_e32 v136, 6, v136
	v_mul_lo_u32 v142, s2, v99
	v_mul_hi_u32 v140, 0x38e38e39, v138
	s_mov_b32 s8, 0xe976ee23
	v_dual_mov_b32 v137, 0 :: v_dual_lshlrev_b32 v50, 4, v48
	s_mov_b32 s18, 0x37e14327
	s_mov_b32 s14, 0x36b3c0b5
	;; [unrolled: 1-line block ×3, first 2 shown]
	global_load_b128 v[88:91], v50, s[4:5] offset:4656
	v_lshlrev_b64_e32 v[48:49], 4, v[136:137]
	s_clause 0x2
	global_load_b128 v[80:83], v50, s[4:5] offset:4576
	global_load_b128 v[92:95], v50, s[4:5] offset:4592
	;; [unrolled: 1-line block ×3, first 2 shown]
	v_mul_lo_u32 v136, s3, v98
	v_mad_co_u64_u32 v[98:99], null, s2, v98, 0
	v_lshrrev_b32_e32 v144, 6, v140
	v_add_co_u32 v52, vcc_lo, s4, v48
	s_wait_alu 0xfffd
	v_add_co_ci_u32_e32 v53, vcc_lo, s5, v49, vcc_lo
	v_lshlrev_b64_e32 v[140:141], 4, v[96:97]
	v_add3_u32 v99, v99, v142, v136
	s_clause 0x7
	global_load_b128 v[76:79], v[52:53], off offset:4656
	global_load_b128 v[68:71], v[52:53], off offset:4576
	global_load_b128 v[64:67], v[52:53], off offset:4592
	global_load_b128 v[72:75], v[52:53], off offset:4640
	global_load_b128 v[60:63], v50, s[4:5] offset:4608
	global_load_b128 v[56:59], v50, s[4:5] offset:4624
	global_load_b128 v[48:51], v[52:53], off offset:4624
	global_load_b128 v[52:55], v[52:53], off offset:4608
	v_mul_u32_u24_e32 v136, 0x120, v144
	s_mov_b32 s9, 0x3fe11646
	v_lshlrev_b64_e32 v[97:98], 4, v[98:99]
	s_mov_b32 s19, 0x3fe948f6
	s_mov_b32 s15, 0x3fac98ee
	v_sub_nc_u32_e32 v99, v138, v136
	s_mov_b32 s23, 0xbfebfeb5
	s_mov_b32 s6, 0xb247c609
	v_add_co_u32 v152, s1, s10, v97
	s_wait_alu 0xf1fe
	v_add_co_ci_u32_e64 v153, s1, s11, v98, s1
	v_add_nc_u32_e32 v174, 0x5a0, v99
	v_mad_co_u64_u32 v[97:98], null, s16, v99, 0
	v_add_nc_u32_e32 v175, 0x6c0, v99
	v_add_nc_u32_e32 v171, 0x240, v99
	s_delay_alu instid0(VALU_DEP_4) | instskip(SKIP_1) | instid1(VALU_DEP_4)
	v_mad_co_u64_u32 v[160:161], null, s16, v174, 0
	v_add_nc_u32_e32 v170, 0x120, v99
	v_mad_co_u64_u32 v[164:165], null, s16, v175, 0
	v_add_nc_u32_e32 v173, 0x480, v99
	v_mad_co_u64_u32 v[154:155], null, s16, v171, 0
	s_mov_b32 s12, 0xaaaaaaaa
	s_mov_b32 s24, 0x5476071b
	s_delay_alu instid0(VALU_DEP_2)
	v_mad_co_u64_u32 v[158:159], null, s16, v173, 0
	s_mov_b32 s7, 0xbfd5d0dc
	s_mov_b32 s13, 0xbff2aaaa
	s_mov_b32 s21, 0x3fd5d0dc
	s_mov_b32 s25, 0xbfe77f67
	s_mov_b32 s27, 0x3fe77f67
	s_mov_b32 s20, s6
	s_wait_alu 0xfffe
	s_mov_b32 s26, s24
	s_mov_b32 s2, 0x37c3f68c
	;; [unrolled: 1-line block ×3, first 2 shown]
	s_wait_loadcnt_dscnt 0xa07
	v_mul_f64_e32 v[144:145], v[40:41], v[82:83]
	v_mul_f64_e32 v[146:147], v[8:9], v[82:83]
	v_add_co_u32 v82, s1, v152, v140
	s_wait_alu 0xf1ff
	v_add_co_ci_u32_e64 v83, s1, v153, v141, s1
	v_mad_co_u64_u32 v[152:153], null, s16, v170, 0
	s_wait_loadcnt_dscnt 0x702
	v_mul_f64_e32 v[140:141], v[46:47], v[78:79]
	v_mul_f64_e32 v[78:79], v[22:23], v[78:79]
	v_add_nc_u32_e32 v148, 0x70, v138
	v_mul_f64_e32 v[150:151], v[32:33], v[86:87]
	v_mul_f64_e32 v[86:87], v[16:17], v[86:87]
	s_wait_loadcnt 0x6
	v_mul_f64_e32 v[162:163], v[10:11], v[70:71]
	v_mul_f64_e32 v[70:71], v[42:43], v[70:71]
	s_wait_loadcnt 0x4
	v_mul_f64_e32 v[168:169], v[18:19], v[74:75]
	v_mul_f64_e32 v[74:75], v[34:35], v[74:75]
	v_fma_f64 v[8:9], v[8:9], v[80:81], v[144:145]
	v_fma_f64 v[40:41], v[40:41], v[80:81], -v[146:147]
	s_wait_loadcnt 0x3
	v_mul_f64_e32 v[80:81], v[28:29], v[62:63]
	v_mul_f64_e32 v[62:63], v[0:1], v[62:63]
	v_fma_f64 v[22:23], v[22:23], v[76:77], v[140:141]
	v_fma_f64 v[46:47], v[46:47], v[76:77], -v[78:79]
	v_mad_co_u64_u32 v[78:79], null, s17, v99, v[98:99]
	v_mov_b32_e32 v79, v153
	v_mul_hi_u32 v143, 0x38e38e39, v148
	v_fma_f64 v[16:17], v[16:17], v[84:85], v[150:151]
	v_fma_f64 v[32:33], v[32:33], v[84:85], -v[86:87]
	s_wait_loadcnt 0x1
	v_mul_f64_e32 v[84:85], v[26:27], v[50:51]
	v_mul_f64_e32 v[50:51], v[6:7], v[50:51]
	v_fma_f64 v[10:11], v[10:11], v[68:69], v[70:71]
	s_wait_loadcnt 0x0
	v_mul_f64_e32 v[76:77], v[30:31], v[54:55]
	v_mul_f64_e32 v[54:55], v[2:3], v[54:55]
	v_lshrrev_b32_e32 v166, 6, v143
	v_mul_f64_e32 v[142:143], v[44:45], v[90:91]
	v_mul_f64_e32 v[90:91], v[20:21], v[90:91]
	v_fma_f64 v[42:43], v[42:43], v[68:69], -v[162:163]
	v_fma_f64 v[34:35], v[34:35], v[72:73], -v[168:169]
	v_mul_u32_u24_e32 v136, 0x120, v166
	v_fma_f64 v[18:19], v[18:19], v[72:73], v[74:75]
	v_mov_b32_e32 v86, v155
	v_mov_b32_e32 v98, v78
	s_delay_alu instid0(VALU_DEP_4) | instskip(SKIP_2) | instid1(VALU_DEP_3)
	v_sub_nc_u32_e32 v136, v148, v136
	v_mul_f64_e32 v[148:149], v[36:37], v[94:95]
	v_mul_f64_e32 v[94:95], v[12:13], v[94:95]
	v_mad_u32_u24 v136, 0x7e0, v166, v136
	v_mul_f64_e32 v[166:167], v[14:15], v[66:67]
	v_mul_f64_e32 v[66:67], v[38:39], v[66:67]
	v_fma_f64 v[0:1], v[0:1], v[60:61], v[80:81]
	v_fma_f64 v[28:29], v[28:29], v[60:61], -v[62:63]
	v_add_nc_u32_e32 v144, 0x6c0, v136
	v_fma_f64 v[6:7], v[6:7], v[48:49], v[84:85]
	v_fma_f64 v[26:27], v[26:27], v[48:49], -v[50:51]
	v_fma_f64 v[2:3], v[2:3], v[52:53], v[76:77]
	v_fma_f64 v[30:31], v[30:31], v[52:53], -v[54:55]
	;; [unrolled: 2-line block ×3, first 2 shown]
	v_mul_f64_e32 v[90:91], v[24:25], v[58:59]
	v_mul_f64_e32 v[58:59], v[4:5], v[58:59]
	v_mad_co_u64_u32 v[88:89], null, s16, v136, 0
	v_add_nc_u32_e32 v172, 0x360, v99
	v_fma_f64 v[12:13], v[12:13], v[92:93], v[148:149]
	v_fma_f64 v[36:37], v[36:37], v[92:93], -v[94:95]
	v_mov_b32_e32 v93, v161
	v_mad_co_u64_u32 v[48:49], null, s17, v170, v[79:80]
	v_fma_f64 v[38:39], v[38:39], v[64:65], -v[166:167]
	v_fma_f64 v[14:15], v[14:15], v[64:65], v[66:67]
	v_add_f64_e32 v[79:80], v[10:11], v[22:23]
	v_add_f64_e64 v[10:11], v[10:11], -v[22:23]
	v_mov_b32_e32 v94, v165
	v_dual_mov_b32 v92, v159 :: v_dual_add_nc_u32 v95, 0x120, v136
	v_dual_mov_b32 v153, v48 :: v_dual_add_nc_u32 v142, 0x240, v136
	s_delay_alu instid0(VALU_DEP_2) | instskip(NEXT) | instid1(VALU_DEP_2)
	v_mad_co_u64_u32 v[64:65], null, s16, v95, 0
	v_mad_co_u64_u32 v[66:67], null, s16, v142, 0
	v_add_f64_e32 v[72:73], v[8:9], v[20:21]
	v_add_f64_e32 v[60:61], v[40:41], v[44:45]
	v_fma_f64 v[4:5], v[4:5], v[56:57], v[90:91]
	v_fma_f64 v[24:25], v[24:25], v[56:57], -v[58:59]
	v_mad_co_u64_u32 v[58:59], null, s16, v144, 0
	v_add_nc_u32_e32 v141, 0x5a0, v136
	v_add_f64_e64 v[8:9], v[8:9], -v[20:21]
	v_add_f64_e64 v[20:21], v[40:41], -v[44:45]
	v_add_f64_e32 v[74:75], v[12:13], v[16:17]
	v_add_f64_e32 v[62:63], v[36:37], v[32:33]
	v_mov_b32_e32 v22, v59
	v_mad_co_u64_u32 v[56:57], null, s16, v141, 0
	v_add_f64_e64 v[12:13], v[12:13], -v[16:17]
	v_add_f64_e32 v[54:55], v[38:39], v[34:35]
	v_add_f64_e32 v[84:85], v[14:15], v[18:19]
	v_add_f64_e64 v[14:15], v[14:15], -v[18:19]
	v_add_f64_e64 v[18:19], v[6:7], -v[2:3]
	v_add_f64_e32 v[2:3], v[6:7], v[2:3]
	v_add_f64_e32 v[6:7], v[26:27], v[30:31]
	v_add_f64_e64 v[26:27], v[26:27], -v[30:31]
	v_add_f64_e64 v[30:31], v[38:39], -v[34:35]
	v_lshlrev_b64_e32 v[34:35], 4, v[97:98]
	v_add_f64_e64 v[16:17], v[4:5], -v[0:1]
	v_add_f64_e32 v[0:1], v[4:5], v[0:1]
	v_add_f64_e32 v[4:5], v[24:25], v[28:29]
	v_add_f64_e64 v[24:25], v[24:25], -v[28:29]
	v_add_f64_e64 v[28:29], v[36:37], -v[32:33]
	v_mov_b32_e32 v33, v57
	v_mad_co_u64_u32 v[76:77], null, s17, v174, v[93:94]
	v_mov_b32_e32 v77, v89
	v_mad_co_u64_u32 v[156:157], null, s16, v172, 0
	v_add_nc_u32_e32 v96, 0xe0, v138
	v_add_f64_e32 v[36:37], v[60:61], v[62:63]
	v_add_f64_e32 v[40:41], v[72:73], v[74:75]
	v_mad_co_u64_u32 v[77:78], null, s17, v136, v[77:78]
	v_add_f64_e32 v[44:45], v[79:80], v[84:85]
	v_mov_b32_e32 v87, v157
	v_add_f64_e64 v[146:147], v[2:3], -v[84:85]
	v_mov_b32_e32 v161, v76
	v_add_f64_e64 v[150:151], v[14:15], -v[10:11]
	v_add_f64_e64 v[148:149], v[26:27], -v[30:31]
	v_mad_co_u64_u32 v[49:50], null, s17, v171, v[86:87]
	v_mad_co_u64_u32 v[50:51], null, s17, v172, v[87:88]
	;; [unrolled: 1-line block ×3, first 2 shown]
	v_add_f64_e32 v[52:53], v[42:43], v[46:47]
	v_add_f64_e64 v[42:43], v[42:43], -v[46:47]
	v_dual_mov_b32 v155, v49 :: v_dual_add_nc_u32 v140, 0x480, v136
	v_mad_co_u64_u32 v[86:87], null, s17, v175, v[94:95]
	v_mad_co_u64_u32 v[46:47], null, s17, v95, v[65:66]
	s_delay_alu instid0(VALU_DEP_3)
	v_mad_co_u64_u32 v[70:71], null, s16, v140, 0
	v_add_nc_u32_e32 v143, 0x360, v136
	v_mov_b32_e32 v157, v50
	v_mov_b32_e32 v159, v51
	;; [unrolled: 1-line block ×3, first 2 shown]
	v_add_f64_e64 v[86:87], v[4:5], -v[62:63]
	v_add_f64_e64 v[90:91], v[0:1], -v[74:75]
	v_mov_b32_e32 v32, v71
	v_mad_co_u64_u32 v[68:69], null, s16, v143, 0
	v_add_f64_e64 v[92:93], v[24:25], -v[28:29]
	v_add_f64_e64 v[94:95], v[12:13], -v[8:9]
	v_add_f64_e64 v[97:98], v[28:29], -v[20:21]
	v_add_f64_e32 v[36:37], v[4:5], v[36:37]
	v_add_f64_e32 v[40:41], v[0:1], v[40:41]
	v_mad_co_u64_u32 v[22:23], null, s17, v144, v[22:23]
	v_mad_co_u64_u32 v[47:48], null, s17, v142, v[67:68]
	;; [unrolled: 1-line block ×5, first 2 shown]
	v_add_f64_e64 v[50:51], v[16:17], -v[12:13]
	v_add_f64_e64 v[140:141], v[60:61], -v[4:5]
	;; [unrolled: 1-line block ×4, first 2 shown]
	v_add_f64_e32 v[38:39], v[52:53], v[54:55]
	v_add_f64_e64 v[144:145], v[6:7], -v[54:55]
	v_add_f64_e32 v[44:45], v[2:3], v[44:45]
	v_add_f64_e64 v[162:163], v[52:53], -v[6:7]
	v_mov_b32_e32 v89, v77
	v_lshlrev_b64_e32 v[76:77], 4, v[152:153]
	v_lshlrev_b64_e32 v[152:153], 4, v[154:155]
	;; [unrolled: 1-line block ×3, first 2 shown]
	v_add_f64_e64 v[156:157], v[30:31], -v[42:43]
	v_add_f64_e64 v[166:167], v[79:80], -v[2:3]
	;; [unrolled: 1-line block ×3, first 2 shown]
	v_add_f64_e32 v[12:13], v[16:17], v[12:13]
	v_add_f64_e64 v[16:17], v[20:21], -v[24:25]
	v_add_f64_e32 v[23:24], v[24:25], v[28:29]
	v_add_f64_e64 v[28:29], v[62:63], -v[60:61]
	v_add_f64_e64 v[60:61], v[74:75], -v[72:73]
	v_add_f64_e32 v[14:15], v[18:19], v[14:15]
	v_add_f64_e32 v[30:31], v[26:27], v[30:31]
	v_mul_f64_e32 v[62:63], s[14:15], v[86:87]
	v_mul_f64_e32 v[72:73], s[14:15], v[90:91]
	;; [unrolled: 1-line block ×4, first 2 shown]
	v_add_f64_e64 v[52:53], v[54:55], -v[52:53]
	s_wait_dscnt 0x1
	v_add_f64_e32 v[2:3], v[134:135], v[36:37]
	v_add_f64_e32 v[0:1], v[130:131], v[40:41]
	v_mul_f64_e32 v[90:91], s[22:23], v[97:98]
	v_add_f64_e64 v[18:19], v[10:11], -v[18:19]
	v_add_f64_e64 v[25:26], v[42:43], -v[26:27]
	v_add_co_u32 v172, s1, v82, v34
	v_add_f64_e64 v[78:79], v[84:85], -v[79:80]
	s_wait_alu 0xf1ff
	v_add_co_ci_u32_e64 v173, s1, v83, v35, s1
	v_mov_b32_e32 v69, v48
	v_mul_f64_e32 v[50:51], s[8:9], v[50:51]
	v_mul_f64_e32 v[54:55], s[18:19], v[140:141]
	;; [unrolled: 1-line block ×4, first 2 shown]
	v_add_f64_e32 v[38:39], v[6:7], v[38:39]
	v_mul_f64_e32 v[134:135], s[14:15], v[144:145]
	v_mul_f64_e32 v[144:145], s[14:15], v[146:147]
	;; [unrolled: 1-line block ×3, first 2 shown]
	v_add_f64_e32 v[4:5], v[128:129], v[44:45]
	v_mul_f64_e32 v[148:149], s[22:23], v[150:151]
	v_mul_f64_e32 v[170:171], s[18:19], v[162:163]
	v_mov_b32_e32 v71, v49
	v_mul_f64_e32 v[33:34], s[22:23], v[156:157]
	v_mul_f64_e32 v[80:81], s[18:19], v[166:167]
	v_mov_b32_e32 v59, v22
	v_add_f64_e32 v[8:9], v[8:9], v[12:13]
	v_mov_b32_e32 v65, v46
	v_add_f64_e32 v[12:13], v[20:21], v[23:24]
	v_mov_b32_e32 v67, v47
	v_lshlrev_b64_e32 v[46:47], 4, v[88:89]
	v_add_f64_e32 v[10:11], v[10:11], v[14:15]
	v_add_f64_e32 v[14:15], v[42:43], v[30:31]
	v_fma_f64 v[22:23], v[140:141], s[18:19], v[62:63]
	v_fma_f64 v[30:31], v[142:143], s[18:19], v[72:73]
	;; [unrolled: 1-line block ×3, first 2 shown]
	v_fma_f64 v[48:49], v[168:169], s[20:21], -v[86:87]
	v_fma_f64 v[74:75], v[97:98], s[22:23], -v[74:75]
	v_fma_f64 v[35:36], v[36:37], s[12:13], v[2:3]
	v_fma_f64 v[40:41], v[40:41], s[12:13], v[0:1]
	v_fma_f64 v[16:17], v[16:17], s[20:21], -v[90:91]
	v_mov_b32_e32 v57, v32
	v_add_co_u32 v76, s1, v82, v76
	s_wait_alu 0xf1ff
	v_add_co_ci_u32_e64 v77, s1, v83, v77, s1
	v_lshlrev_b64_e32 v[158:159], 4, v[158:159]
	v_lshlrev_b64_e32 v[160:161], 4, v[160:161]
	;; [unrolled: 1-line block ×3, first 2 shown]
	v_fma_f64 v[20:21], v[168:169], s[6:7], v[50:51]
	v_fma_f64 v[50:51], v[94:95], s[22:23], -v[50:51]
	v_fma_f64 v[54:55], v[28:29], s[24:25], -v[54:55]
	;; [unrolled: 1-line block ×3, first 2 shown]
	s_wait_dscnt 0x0
	v_add_f64_e32 v[6:7], v[132:133], v[38:39]
	v_fma_f64 v[27:28], v[28:29], s[26:27], -v[62:63]
	v_fma_f64 v[60:61], v[60:61], s[26:27], -v[72:73]
	v_fma_f64 v[62:63], v[18:19], s[6:7], v[130:131]
	v_fma_f64 v[72:73], v[162:163], s[18:19], v[134:135]
	v_fma_f64 v[86:87], v[166:167], s[18:19], v[144:145]
	v_fma_f64 v[88:89], v[25:26], s[6:7], v[146:147]
	v_fma_f64 v[44:45], v[44:45], s[12:13], v[4:5]
	v_fma_f64 v[18:19], v[18:19], s[20:21], -v[148:149]
	v_fma_f64 v[90:91], v[150:151], s[22:23], -v[130:131]
	;; [unrolled: 1-line block ×8, first 2 shown]
	v_add_co_u32 v94, s1, v82, v152
	s_wait_alu 0xf1ff
	v_add_co_ci_u32_e64 v95, s1, v83, v153, s1
	s_wait_alu 0xfffe
	v_fma_f64 v[42:43], v[12:13], s[2:3], v[42:43]
	v_fma_f64 v[48:49], v[8:9], s[2:3], v[48:49]
	v_add_co_u32 v97, s1, v82, v154
	v_add_f64_e32 v[132:133], v[30:31], v[40:41]
	v_fma_f64 v[130:131], v[12:13], s[2:3], v[16:17]
	s_wait_alu 0xf1ff
	v_add_co_ci_u32_e64 v98, s1, v83, v155, s1
	v_lshlrev_b64_e32 v[64:65], 4, v[64:65]
	v_lshlrev_b64_e32 v[66:67], 4, v[66:67]
	;; [unrolled: 1-line block ×6, first 2 shown]
	v_fma_f64 v[128:129], v[8:9], s[2:3], v[20:21]
	v_fma_f64 v[20:21], v[8:9], s[2:3], v[50:51]
	;; [unrolled: 1-line block ×3, first 2 shown]
	v_add_f64_e32 v[74:75], v[22:23], v[35:36]
	v_fma_f64 v[37:38], v[38:39], s[12:13], v[6:7]
	v_add_f64_e32 v[29:30], v[54:55], v[35:36]
	v_add_f64_e32 v[22:23], v[27:28], v[35:36]
	;; [unrolled: 1-line block ×4, first 2 shown]
	v_fma_f64 v[40:41], v[10:11], s[2:3], v[62:63]
	v_fma_f64 v[62:63], v[14:15], s[2:3], v[88:89]
	v_add_f64_e32 v[86:87], v[86:87], v[44:45]
	v_fma_f64 v[84:85], v[10:11], s[2:3], v[18:19]
	v_fma_f64 v[88:89], v[10:11], s[2:3], v[90:91]
	v_add_co_u32 v60, s1, v82, v158
	v_add_f64_e32 v[80:81], v[80:81], v[44:45]
	s_wait_alu 0xf1ff
	v_add_co_ci_u32_e64 v61, s1, v83, v159, s1
	v_fma_f64 v[32:33], v[14:15], s[2:3], v[32:33]
	v_add_f64_e32 v[78:79], v[78:79], v[44:45]
	v_add_co_u32 v134, s1, v82, v160
	s_wait_alu 0xf1ff
	v_add_co_ci_u32_e64 v135, s1, v83, v161, s1
	v_add_co_u32 v140, s1, v82, v164
	s_wait_alu 0xf1ff
	v_add_co_ci_u32_e64 v141, s1, v83, v165, s1
	v_add_f64_e64 v[8:9], v[132:133], -v[42:43]
	v_add_co_u32 v142, s1, v82, v46
	s_wait_alu 0xf1ff
	v_add_co_ci_u32_e64 v143, s1, v83, v47, s1
	v_cmp_gt_u32_e32 vcc_lo, 0x120, v96
	v_add_f64_e32 v[10:11], v[128:129], v[74:75]
	v_add_f64_e32 v[72:73], v[72:73], v[37:38]
	v_add_f64_e32 v[90:91], v[92:93], v[37:38]
	v_fma_f64 v[92:93], v[14:15], s[2:3], v[24:25]
	v_add_f64_e32 v[36:37], v[52:53], v[37:38]
	v_add_f64_e32 v[14:15], v[48:49], v[29:30]
	v_add_f64_e64 v[18:19], v[22:23], -v[20:21]
	v_add_f64_e32 v[16:17], v[50:51], v[26:27]
	v_add_f64_e32 v[22:23], v[20:21], v[22:23]
	v_add_f64_e64 v[20:21], v[26:27], -v[50:51]
	v_add_f64_e64 v[26:27], v[29:30], -v[48:49]
	;; [unrolled: 1-line block ×3, first 2 shown]
	v_add_f64_e32 v[28:29], v[42:43], v[132:133]
	v_add_f64_e32 v[24:25], v[130:131], v[54:55]
	v_add_f64_e64 v[12:13], v[54:55], -v[130:131]
	v_add_f64_e32 v[52:53], v[62:63], v[86:87]
	v_add_f64_e64 v[44:45], v[78:79], -v[32:33]
	v_add_f64_e64 v[54:55], v[72:73], -v[40:41]
	;; [unrolled: 1-line block ×3, first 2 shown]
	v_add_f64_e32 v[48:49], v[92:93], v[80:81]
	v_add_f64_e32 v[46:47], v[88:89], v[36:37]
	;; [unrolled: 1-line block ×3, first 2 shown]
	v_add_f64_e64 v[42:43], v[36:37], -v[88:89]
	v_add_f64_e32 v[40:41], v[32:33], v[78:79]
	v_add_f64_e32 v[38:39], v[84:85], v[90:91]
	v_add_f64_e64 v[36:37], v[80:81], -v[92:93]
	v_add_f64_e64 v[32:33], v[86:87], -v[62:63]
	v_add_co_u32 v62, s1, v82, v64
	s_wait_alu 0xf1ff
	v_add_co_ci_u32_e64 v63, s1, v83, v65, s1
	v_add_co_u32 v64, s1, v82, v66
	s_wait_alu 0xf1ff
	v_add_co_ci_u32_e64 v65, s1, v83, v67, s1
	;; [unrolled: 3-line block ×6, first 2 shown]
	s_clause 0xd
	global_store_b128 v[172:173], v[0:3], off
	global_store_b128 v[76:77], v[28:31], off
	;; [unrolled: 1-line block ×14, first 2 shown]
	s_and_b32 exec_lo, exec_lo, vcc_lo
	s_cbranch_execz .LBB0_20
; %bb.19:
	v_subrev_nc_u32_e32 v0, 64, v138
	v_add_nc_u32_e32 v60, 0x200, v138
	v_add_nc_u32_e32 v61, 0x320, v138
	;; [unrolled: 1-line block ×4, first 2 shown]
	v_cndmask_b32_e64 v0, v0, v139, s0
	v_add_nc_u32_e32 v64, 0x680, v138
	v_add_nc_u32_e32 v65, 0x7a0, v138
	s_delay_alu instid0(VALU_DEP_3) | instskip(NEXT) | instid1(VALU_DEP_2)
	v_mul_i32_i24_e32 v136, 6, v0
	v_mad_co_u64_u32 v[48:49], null, s16, v65, 0
	s_delay_alu instid0(VALU_DEP_2) | instskip(NEXT) | instid1(VALU_DEP_1)
	v_lshlrev_b64_e32 v[0:1], 4, v[136:137]
	v_add_co_u32 v20, vcc_lo, s4, v0
	s_wait_alu 0xfffd
	s_delay_alu instid0(VALU_DEP_2)
	v_add_co_ci_u32_e32 v21, vcc_lo, s5, v1, vcc_lo
	s_clause 0x5
	global_load_b128 v[0:3], v[20:21], off offset:4576
	global_load_b128 v[4:7], v[20:21], off offset:4592
	;; [unrolled: 1-line block ×6, first 2 shown]
	s_wait_loadcnt 0x5
	v_mul_f64_e32 v[24:25], v[116:117], v[2:3]
	v_mul_f64_e32 v[2:3], v[102:103], v[2:3]
	s_wait_loadcnt 0x4
	v_mul_f64_e32 v[26:27], v[120:121], v[6:7]
	v_mul_f64_e32 v[6:7], v[106:107], v[6:7]
	;; [unrolled: 3-line block ×6, first 2 shown]
	v_fma_f64 v[24:25], v[102:103], v[0:1], v[24:25]
	v_fma_f64 v[0:1], v[116:117], v[0:1], -v[2:3]
	v_fma_f64 v[2:3], v[106:107], v[4:5], v[26:27]
	v_fma_f64 v[4:5], v[120:121], v[4:5], -v[6:7]
	;; [unrolled: 2-line block ×6, first 2 shown]
	v_add_f64_e32 v[22:23], v[24:25], v[6:7]
	v_add_f64_e32 v[26:27], v[0:1], v[8:9]
	v_add_f64_e32 v[28:29], v[2:3], v[10:11]
	v_add_f64_e32 v[30:31], v[4:5], v[12:13]
	v_add_f64_e64 v[2:3], v[2:3], -v[10:11]
	v_add_f64_e64 v[4:5], v[4:5], -v[12:13]
	v_add_f64_e32 v[10:11], v[14:15], v[18:19]
	v_add_f64_e32 v[12:13], v[16:17], v[20:21]
	v_add_f64_e64 v[14:15], v[18:19], -v[14:15]
	v_add_f64_e64 v[16:17], v[20:21], -v[16:17]
	;; [unrolled: 1-line block ×4, first 2 shown]
	v_add_f64_e32 v[0:1], v[28:29], v[22:23]
	v_add_f64_e32 v[18:19], v[30:31], v[26:27]
	v_add_f64_e64 v[20:21], v[22:23], -v[10:11]
	v_add_f64_e64 v[24:25], v[26:27], -v[12:13]
	;; [unrolled: 1-line block ×6, first 2 shown]
	v_add_f64_e32 v[42:43], v[14:15], v[2:3]
	v_add_f64_e32 v[4:5], v[16:17], v[4:5]
	v_add_f64_e64 v[14:15], v[6:7], -v[14:15]
	v_add_f64_e64 v[16:17], v[8:9], -v[16:17]
	;; [unrolled: 1-line block ×4, first 2 shown]
	v_add_f64_e32 v[40:41], v[10:11], v[0:1]
	v_add_f64_e32 v[18:19], v[12:13], v[18:19]
	v_add_f64_e64 v[10:11], v[10:11], -v[28:29]
	v_add_f64_e64 v[12:13], v[12:13], -v[30:31]
	v_mul_f64_e32 v[20:21], s[18:19], v[20:21]
	v_mul_f64_e32 v[24:25], s[18:19], v[24:25]
	v_mul_f64_e32 v[32:33], s[8:9], v[32:33]
	v_mul_f64_e32 v[34:35], s[8:9], v[34:35]
	v_mul_f64_e32 v[46:47], s[22:23], v[38:39]
	v_mul_f64_e32 v[44:45], s[22:23], v[36:37]
	v_add_f64_e32 v[6:7], v[42:43], v[6:7]
	v_add_f64_e32 v[4:5], v[4:5], v[8:9]
	;; [unrolled: 1-line block ×4, first 2 shown]
	v_mul_f64_e32 v[28:29], s[14:15], v[10:11]
	v_mul_f64_e32 v[30:31], s[14:15], v[12:13]
	v_fma_f64 v[8:9], v[10:11], s[14:15], v[20:21]
	v_fma_f64 v[10:11], v[12:13], s[14:15], v[24:25]
	;; [unrolled: 1-line block ×4, first 2 shown]
	v_fma_f64 v[32:33], v[36:37], s[22:23], -v[32:33]
	v_fma_f64 v[14:15], v[14:15], s[20:21], -v[44:45]
	;; [unrolled: 1-line block ×6, first 2 shown]
	v_mad_co_u64_u32 v[38:39], null, s16, v61, 0
	v_mad_co_u64_u32 v[44:45], null, s16, v63, 0
	;; [unrolled: 1-line block ×3, first 2 shown]
	v_fma_f64 v[36:37], v[40:41], s[12:13], v[0:1]
	v_fma_f64 v[18:19], v[18:19], s[12:13], v[2:3]
	v_fma_f64 v[22:23], v[22:23], s[26:27], -v[28:29]
	v_fma_f64 v[26:27], v[26:27], s[26:27], -v[30:31]
	v_mad_co_u64_u32 v[28:29], null, s16, v96, 0
	v_fma_f64 v[50:51], v[6:7], s[2:3], v[12:13]
	v_fma_f64 v[42:43], v[4:5], s[2:3], v[42:43]
	;; [unrolled: 1-line block ×5, first 2 shown]
	v_mad_co_u64_u32 v[30:31], null, s16, v60, 0
	v_fma_f64 v[34:35], v[4:5], s[2:3], v[34:35]
	v_mad_co_u64_u32 v[40:41], null, s16, v62, 0
	v_mov_b32_e32 v6, v39
	s_delay_alu instid0(VALU_DEP_4) | instskip(SKIP_1) | instid1(VALU_DEP_4)
	v_mad_co_u64_u32 v[4:5], null, s17, v96, v[29:30]
	v_mov_b32_e32 v5, v31
	v_mov_b32_e32 v7, v41
	s_delay_alu instid0(VALU_DEP_3) | instskip(NEXT) | instid1(VALU_DEP_1)
	v_mov_b32_e32 v29, v4
	v_lshlrev_b64_e32 v[28:29], 4, v[28:29]
	s_delay_alu instid0(VALU_DEP_1)
	v_add_co_u32 v28, vcc_lo, v82, v28
	v_add_f64_e32 v[56:57], v[8:9], v[36:37]
	v_add_f64_e32 v[58:59], v[10:11], v[18:19]
	v_mov_b32_e32 v10, v49
	v_add_f64_e32 v[20:21], v[20:21], v[36:37]
	v_add_f64_e32 v[24:25], v[24:25], v[18:19]
	;; [unrolled: 1-line block ×4, first 2 shown]
	v_mov_b32_e32 v8, v45
	v_mad_co_u64_u32 v[11:12], null, s17, v60, v[5:6]
	v_mov_b32_e32 v9, v47
	v_mad_co_u64_u32 v[5:6], null, s17, v61, v[6:7]
	s_delay_alu instid0(VALU_DEP_4) | instskip(NEXT) | instid1(VALU_DEP_3)
	v_mad_co_u64_u32 v[6:7], null, s17, v62, v[7:8]
	v_mad_co_u64_u32 v[7:8], null, s17, v63, v[8:9]
	;; [unrolled: 1-line block ×4, first 2 shown]
	v_mov_b32_e32 v39, v5
	v_mov_b32_e32 v41, v6
	;; [unrolled: 1-line block ×5, first 2 shown]
	v_lshlrev_b64_e32 v[36:37], 4, v[38:39]
	v_mov_b32_e32 v49, v9
	s_wait_alu 0xfffd
	v_add_co_ci_u32_e32 v29, vcc_lo, v83, v29, vcc_lo
	v_lshlrev_b64_e32 v[30:31], 4, v[30:31]
	v_lshlrev_b64_e32 v[38:39], 4, v[40:41]
	;; [unrolled: 1-line block ×3, first 2 shown]
	s_delay_alu instid0(VALU_DEP_3)
	v_add_co_u32 v30, vcc_lo, v82, v30
	v_add_f64_e32 v[4:5], v[42:43], v[56:57]
	v_add_f64_e64 v[6:7], v[58:59], -v[50:51]
	v_add_f64_e32 v[26:27], v[50:51], v[58:59]
	v_add_f64_e32 v[8:9], v[54:55], v[20:21]
	v_add_f64_e64 v[10:11], v[24:25], -v[52:53]
	v_add_f64_e64 v[12:13], v[16:17], -v[34:35]
	v_add_f64_e32 v[14:15], v[32:33], v[18:19]
	v_add_f64_e32 v[16:17], v[34:35], v[16:17]
	v_add_f64_e64 v[18:19], v[18:19], -v[32:33]
	v_add_f64_e64 v[20:21], v[20:21], -v[54:55]
	v_add_f64_e32 v[22:23], v[52:53], v[24:25]
	v_add_f64_e64 v[24:25], v[56:57], -v[42:43]
	s_wait_alu 0xfffd
	v_add_co_ci_u32_e32 v31, vcc_lo, v83, v31, vcc_lo
	v_lshlrev_b64_e32 v[32:33], 4, v[44:45]
	v_add_co_u32 v36, vcc_lo, v82, v36
	s_wait_alu 0xfffd
	v_add_co_ci_u32_e32 v37, vcc_lo, v83, v37, vcc_lo
	v_lshlrev_b64_e32 v[34:35], 4, v[46:47]
	v_add_co_u32 v38, vcc_lo, v82, v38
	s_wait_alu 0xfffd
	v_add_co_ci_u32_e32 v39, vcc_lo, v83, v39, vcc_lo
	v_add_co_u32 v32, vcc_lo, v82, v32
	s_wait_alu 0xfffd
	v_add_co_ci_u32_e32 v33, vcc_lo, v83, v33, vcc_lo
	;; [unrolled: 3-line block ×4, first 2 shown]
	s_clause 0x6
	global_store_b128 v[28:29], v[0:3], off
	global_store_b128 v[30:31], v[4:7], off
	;; [unrolled: 1-line block ×7, first 2 shown]
.LBB0_20:
	s_nop 0
	s_sendmsg sendmsg(MSG_DEALLOC_VGPRS)
	s_endpgm
	.section	.rodata,"a",@progbits
	.p2align	6, 0x0
	.amdhsa_kernel fft_rtc_back_len2016_factors_2_2_2_2_2_3_3_7_wgs_224_tpt_112_halfLds_dp_op_CI_CI_sbrr_dirReg
		.amdhsa_group_segment_fixed_size 0
		.amdhsa_private_segment_fixed_size 0
		.amdhsa_kernarg_size 104
		.amdhsa_user_sgpr_count 2
		.amdhsa_user_sgpr_dispatch_ptr 0
		.amdhsa_user_sgpr_queue_ptr 0
		.amdhsa_user_sgpr_kernarg_segment_ptr 1
		.amdhsa_user_sgpr_dispatch_id 0
		.amdhsa_user_sgpr_private_segment_size 0
		.amdhsa_wavefront_size32 1
		.amdhsa_uses_dynamic_stack 0
		.amdhsa_enable_private_segment 0
		.amdhsa_system_sgpr_workgroup_id_x 1
		.amdhsa_system_sgpr_workgroup_id_y 0
		.amdhsa_system_sgpr_workgroup_id_z 0
		.amdhsa_system_sgpr_workgroup_info 0
		.amdhsa_system_vgpr_workitem_id 0
		.amdhsa_next_free_vgpr 176
		.amdhsa_next_free_sgpr 43
		.amdhsa_reserve_vcc 1
		.amdhsa_float_round_mode_32 0
		.amdhsa_float_round_mode_16_64 0
		.amdhsa_float_denorm_mode_32 3
		.amdhsa_float_denorm_mode_16_64 3
		.amdhsa_fp16_overflow 0
		.amdhsa_workgroup_processor_mode 1
		.amdhsa_memory_ordered 1
		.amdhsa_forward_progress 0
		.amdhsa_round_robin_scheduling 0
		.amdhsa_exception_fp_ieee_invalid_op 0
		.amdhsa_exception_fp_denorm_src 0
		.amdhsa_exception_fp_ieee_div_zero 0
		.amdhsa_exception_fp_ieee_overflow 0
		.amdhsa_exception_fp_ieee_underflow 0
		.amdhsa_exception_fp_ieee_inexact 0
		.amdhsa_exception_int_div_zero 0
	.end_amdhsa_kernel
	.text
.Lfunc_end0:
	.size	fft_rtc_back_len2016_factors_2_2_2_2_2_3_3_7_wgs_224_tpt_112_halfLds_dp_op_CI_CI_sbrr_dirReg, .Lfunc_end0-fft_rtc_back_len2016_factors_2_2_2_2_2_3_3_7_wgs_224_tpt_112_halfLds_dp_op_CI_CI_sbrr_dirReg
                                        ; -- End function
	.section	.AMDGPU.csdata,"",@progbits
; Kernel info:
; codeLenInByte = 16764
; NumSgprs: 45
; NumVgprs: 176
; ScratchSize: 0
; MemoryBound: 1
; FloatMode: 240
; IeeeMode: 1
; LDSByteSize: 0 bytes/workgroup (compile time only)
; SGPRBlocks: 5
; VGPRBlocks: 21
; NumSGPRsForWavesPerEU: 45
; NumVGPRsForWavesPerEU: 176
; Occupancy: 8
; WaveLimiterHint : 1
; COMPUTE_PGM_RSRC2:SCRATCH_EN: 0
; COMPUTE_PGM_RSRC2:USER_SGPR: 2
; COMPUTE_PGM_RSRC2:TRAP_HANDLER: 0
; COMPUTE_PGM_RSRC2:TGID_X_EN: 1
; COMPUTE_PGM_RSRC2:TGID_Y_EN: 0
; COMPUTE_PGM_RSRC2:TGID_Z_EN: 0
; COMPUTE_PGM_RSRC2:TIDIG_COMP_CNT: 0
	.text
	.p2alignl 7, 3214868480
	.fill 96, 4, 3214868480
	.type	__hip_cuid_328ebdaf436a7f6b,@object ; @__hip_cuid_328ebdaf436a7f6b
	.section	.bss,"aw",@nobits
	.globl	__hip_cuid_328ebdaf436a7f6b
__hip_cuid_328ebdaf436a7f6b:
	.byte	0                               ; 0x0
	.size	__hip_cuid_328ebdaf436a7f6b, 1

	.ident	"AMD clang version 19.0.0git (https://github.com/RadeonOpenCompute/llvm-project roc-6.4.0 25133 c7fe45cf4b819c5991fe208aaa96edf142730f1d)"
	.section	".note.GNU-stack","",@progbits
	.addrsig
	.addrsig_sym __hip_cuid_328ebdaf436a7f6b
	.amdgpu_metadata
---
amdhsa.kernels:
  - .args:
      - .actual_access:  read_only
        .address_space:  global
        .offset:         0
        .size:           8
        .value_kind:     global_buffer
      - .offset:         8
        .size:           8
        .value_kind:     by_value
      - .actual_access:  read_only
        .address_space:  global
        .offset:         16
        .size:           8
        .value_kind:     global_buffer
      - .actual_access:  read_only
        .address_space:  global
        .offset:         24
        .size:           8
        .value_kind:     global_buffer
      - .actual_access:  read_only
        .address_space:  global
        .offset:         32
        .size:           8
        .value_kind:     global_buffer
      - .offset:         40
        .size:           8
        .value_kind:     by_value
      - .actual_access:  read_only
        .address_space:  global
        .offset:         48
        .size:           8
        .value_kind:     global_buffer
      - .actual_access:  read_only
        .address_space:  global
        .offset:         56
        .size:           8
        .value_kind:     global_buffer
      - .offset:         64
        .size:           4
        .value_kind:     by_value
      - .actual_access:  read_only
        .address_space:  global
        .offset:         72
        .size:           8
        .value_kind:     global_buffer
      - .actual_access:  read_only
        .address_space:  global
        .offset:         80
        .size:           8
        .value_kind:     global_buffer
      - .actual_access:  read_only
        .address_space:  global
        .offset:         88
        .size:           8
        .value_kind:     global_buffer
      - .actual_access:  write_only
        .address_space:  global
        .offset:         96
        .size:           8
        .value_kind:     global_buffer
    .group_segment_fixed_size: 0
    .kernarg_segment_align: 8
    .kernarg_segment_size: 104
    .language:       OpenCL C
    .language_version:
      - 2
      - 0
    .max_flat_workgroup_size: 224
    .name:           fft_rtc_back_len2016_factors_2_2_2_2_2_3_3_7_wgs_224_tpt_112_halfLds_dp_op_CI_CI_sbrr_dirReg
    .private_segment_fixed_size: 0
    .sgpr_count:     45
    .sgpr_spill_count: 0
    .symbol:         fft_rtc_back_len2016_factors_2_2_2_2_2_3_3_7_wgs_224_tpt_112_halfLds_dp_op_CI_CI_sbrr_dirReg.kd
    .uniform_work_group_size: 1
    .uses_dynamic_stack: false
    .vgpr_count:     176
    .vgpr_spill_count: 0
    .wavefront_size: 32
    .workgroup_processor_mode: 1
amdhsa.target:   amdgcn-amd-amdhsa--gfx1201
amdhsa.version:
  - 1
  - 2
...

	.end_amdgpu_metadata
